;; amdgpu-corpus repo=ROCm/aiter kind=harvested arch=n/a opt=n/a

/root/src/amdgpu-assembly/repos/ROCm__aiter/hsa/gfx942/fmoe_2stages/fmoe_stage1_bf16_pertokenInt8_g1u1_16x128_4tg_pf3.co:	file format elf64-amdgpu

Disassembly of section .text:

0000000000002a00 <_ZN5aiter49fmoe_stage1_bf16_pertokenInt8_g1u1_16x128_4tg_pf3E>:
	s_and_b32 s1, s1, 0xffff                                   // 000000002A00: 8601FF01 0000FFFF
	s_load_dwordx2 s[8:9], s[0:1], 0x0                         // 000000002A08: C0060200 00000000
	s_load_dwordx2 s[20:21], s[0:1], 0x10                      // 000000002A10: C0060500 00000010
	s_load_dwordx2 s[24:25], s[0:1], 0x20                      // 000000002A18: C0060600 00000020
	s_load_dwordx2 s[48:49], s[0:1], 0x30                      // 000000002A20: C0060C00 00000030
	s_load_dwordx2 s[28:29], s[0:1], 0x40                      // 000000002A28: C0060700 00000040
	s_load_dwordx2 s[32:33], s[0:1], 0x50                      // 000000002A30: C0060800 00000050
	s_load_dwordx2 s[36:37], s[0:1], 0x60                      // 000000002A38: C0060900 00000060
	s_load_dwordx2 s[12:13], s[0:1], 0x70                      // 000000002A40: C0060300 00000070
	s_load_dwordx2 s[44:45], s[0:1], 0x80                      // 000000002A48: C0060B00 00000080
	s_mov_b32 s89, 0                                           // 000000002A50: BED90080
	s_load_dword s64, s[0:1], 0x90                             // 000000002A54: C0021000 00000090
	s_load_dword s65, s[0:1], 0xa0                             // 000000002A5C: C0021040 000000A0
	s_load_dword s66, s[0:1], 0xb0                             // 000000002A64: C0021080 000000B0
	s_load_dword s67, s[0:1], 0xc0                             // 000000002A6C: C00210C0 000000C0
	s_load_dword s68, s[0:1], 0xd0                             // 000000002A74: C0021100 000000D0
	s_load_dword s69, s[0:1], 0xe0                             // 000000002A7C: C0021140 000000E0
	s_load_dword s71, s[0:1], 0xf0                             // 000000002A84: C00211C0 000000F0
	s_load_dword s72, s[0:1], 0x100                            // 000000002A8C: C0021200 00000100
	s_load_dword s74, s[0:1], 0x110                            // 000000002A94: C0021280 00000110
	s_load_dword s76, s[0:1], 0x120                            // 000000002A9C: C0021300 00000120
	s_load_dword s56, s[0:1], 0x130                            // 000000002AA4: C0020E00 00000130
	s_load_dword s88, s[0:1], 0x140                            // 000000002AAC: C0021600 00000140
	s_load_dword s89, s[0:1], 0x150                            // 000000002AB4: C0021640 00000150
	v_lshrrev_b32_e32 v1, 10, v0                               // 000000002ABC: 2002008A
	v_lshrrev_b32_e32 v2, 10, v1                               // 000000002AC0: 2004028A
	v_and_b32_e32 v2, 0x3ff, v2                                // 000000002AC4: 260404FF 000003FF
	v_and_b32_e32 v1, 0x3ff, v1                                // 000000002ACC: 260202FF 000003FF
	v_and_b32_e32 v0, 0x3ff, v0                                // 000000002AD4: 260000FF 000003FF
	v_lshrrev_b32_e32 v3, 6, v0                                // 000000002ADC: 20060086
	v_and_b32_e32 v0, 63, v0                                   // 000000002AE0: 260000BF
	s_mov_b32 s2, s2                                           // 000000002AE4: BE820002
	s_mov_b32 s3, s3                                           // 000000002AE8: BE830003
	s_mov_b32 s4, s4                                           // 000000002AEC: BE840004
	v_readfirstlane_b32 s7, v3                                 // 000000002AF0: 7E0E0503
	s_waitcnt lgkmcnt(0)                                       // 000000002AF4: BF8CC07F
	s_and_b32 s49, s49, 0xffff                                 // 000000002AF8: 8631FF31 0000FFFF
	s_load_dword s48, s[48:49], 0x0                            // 000000002B00: C0020C18 00000000
	s_and_b32 s45, s45, 0xffff                                 // 000000002B08: 862DFF2D 0000FFFF
	s_and_b32 s9, s9, 0xffff                                   // 000000002B10: 8609FF09 0000FFFF
	s_mul_i32 s60, s66, s68                                    // 000000002B18: 923C4442
	s_mul_i32 s61, s66, 4                                      // 000000002B1C: 923D8442
	s_mov_b32 s22, s60                                         // 000000002B20: BE96003C
	s_mov_b32 s26, -16                                         // 000000002B24: BE9A00D0
	s_mov_b32 s30, s61                                         // 000000002B28: BE9E003D
	s_mov_b32 s14, 64                                          // 000000002B2C: BE8E00C0
	s_mov_b32 s38, -16                                         // 000000002B30: BEA600D0
	s_mov_b32 s10, -16                                         // 000000002B34: BE8A00D0
	s_mov_b32 s34, 0x200                                       // 000000002B38: BEA200FF 00000200
	s_mov_b32 s23, 0x20000                                     // 000000002B40: BE9700FF 00020000
	s_mov_b32 s27, 0x20000                                     // 000000002B48: BE9B00FF 00020000
	s_mov_b32 s31, 0x20000                                     // 000000002B50: BE9F00FF 00020000
	s_mov_b32 s35, 0x20000                                     // 000000002B58: BEA300FF 00020000
	s_mov_b32 s15, 0x20000                                     // 000000002B60: BE8F00FF 00020000
	s_mov_b32 s39, 0x20000                                     // 000000002B68: BEA700FF 00020000
	s_mov_b32 s11, 0x20000                                     // 000000002B70: BE8B00FF 00020000
	s_and_b32 s21, s21, 0xffff                                 // 000000002B78: 8615FF15 0000FFFF
	s_and_b32 s25, s25, 0xffff                                 // 000000002B80: 8619FF19 0000FFFF
	s_and_b32 s29, s29, 0xffff                                 // 000000002B88: 861DFF1D 0000FFFF
	s_and_b32 s33, s33, 0xffff                                 // 000000002B90: 8621FF21 0000FFFF
	s_and_b32 s13, s13, 0xffff                                 // 000000002B98: 860DFF0D 0000FFFF
	s_and_b32 s37, s37, 0xffff                                 // 000000002BA0: 8625FF25 0000FFFF
	s_or_b32 s21, s21, 0x40000                                 // 000000002BA8: 8715FF15 00040000
	s_or_b32 s25, s25, 0x40000                                 // 000000002BB0: 8719FF19 00040000
	s_or_b32 s29, s29, 0x40000                                 // 000000002BB8: 871DFF1D 00040000
	s_or_b32 s33, s33, 0x40000                                 // 000000002BC0: 8721FF21 00040000
	s_or_b32 s13, s13, 0x40000                                 // 000000002BC8: 870DFF0D 00040000
	s_or_b32 s37, s37, 0x40000                                 // 000000002BD0: 8725FF25 00040000
	v_accvgpr_write_b32 a63, 0                                 // 000000002BD8: D3D9403F 18000080
	v_mov_b32_e32 v55, 0                                       // 000000002BE0: 7E6E0280
	s_waitcnt lgkmcnt(0)                                       // 000000002BE4: BF8CC07F
	s_mul_i32 s60, s3, 16                                      // 000000002BE8: 923C9003
	s_cmp_lt_i32 s60, s48                                      // 000000002BEC: BF04303C
	s_cbranch_scc0 label_0AD3                                  // 000000002BF0: BF840A53
	s_mov_b32 s80, 0                                           // 000000002BF4: BED00080
	s_lshr_b32 s81, s64, s88                                   // 000000002BF8: 8F515840
	s_mul_i32 s60, s3, 4                                       // 000000002BFC: 923C8403
	s_add_u32 s44, s60, s44                                    // 000000002C00: 802C2C3C
	s_addc_u32 s45, 0, s45                                     // 000000002C04: 822D2D80
	s_load_dword s5, s[44:45], 0x0                             // 000000002C08: C0020156 00000000
	s_mul_i32 s60, s3, 16                                      // 000000002C10: 923C9003
	s_mul_i32 s60, 4, s60                                      // 000000002C14: 923C3C84
	s_add_u32 s12, s60, s12                                    // 000000002C18: 800C0C3C
	s_addc_u32 s13, 0, s13                                     // 000000002C1C: 820D0D80
	v_and_b32_e32 v4, 15, v0                                   // 000000002C20: 2608008F
	v_lshlrev_b32_e32 v4, 2, v4                                // 000000002C24: 24080882
	buffer_load_dword v30, v4, s[12:15], 0 offen               // 000000002C28: E0501000 80031E04
	v_add_u32_e32 v4, 64, v4                                   // 000000002C30: 680808C0
	s_mul_i32 s60, 4, s7                                       // 000000002C34: 923C0784
	v_lshlrev_b32_e32 v4, 4, v0                                // 000000002C38: 24080084
	v_add_u32_e32 v4, s60, v4                                  // 000000002C3C: 6808083C
	buffer_load_dword v3, v4, s[12:15], 0 offen                // 000000002C40: E0501000 80030304
	v_mov_b32_e32 v40, 0                                       // 000000002C48: 7E500280
	v_mov_b32_e32 v48, 0                                       // 000000002C4C: 7E600280
	v_mov_b32_e32 v41, 0                                       // 000000002C50: 7E520280
	v_mov_b32_e32 v49, 0                                       // 000000002C54: 7E620280
	v_mov_b32_e32 v42, 0                                       // 000000002C58: 7E540280
	v_mov_b32_e32 v50, 0                                       // 000000002C5C: 7E640280
	v_mov_b32_e32 v43, 0                                       // 000000002C60: 7E560280
	v_mov_b32_e32 v51, 0                                       // 000000002C64: 7E660280
	v_mov_b32_e32 v44, 0                                       // 000000002C68: 7E580280
	v_mov_b32_e32 v52, 0                                       // 000000002C6C: 7E680280
	v_mov_b32_e32 v45, 0                                       // 000000002C70: 7E5A0280
	v_mov_b32_e32 v53, 0                                       // 000000002C74: 7E6A0280
	v_mov_b32_e32 v46, 0                                       // 000000002C78: 7E5C0280
	v_mov_b32_e32 v54, 0                                       // 000000002C7C: 7E6C0280
	v_mov_b32_e32 v47, 0                                       // 000000002C80: 7E5E0280
	v_mov_b32_e32 v55, 0                                       // 000000002C84: 7E6E0280
	s_mul_i32 s60, s2, 0x100                                   // 000000002C88: 923CFF02 00000100
	s_cmp_eq_u32 s88, 0                                        // 000000002C90: BF068058
	s_cselect_b32 s61, 1, 2                                    // 000000002C94: 853D8281
	s_mul_i32 s60, s60, s61                                    // 000000002C98: 923C3D3C
	s_mov_b32 s90, s8                                          // 000000002C9C: BEDA0008
	s_mov_b32 s91, s9                                          // 000000002CA0: BEDB0009
	s_add_u32 s8, s60, s8                                      // 000000002CA4: 8008083C
	s_addc_u32 s9, 0, s9                                       // 000000002CA8: 82090980
	v_lshrrev_b32_e32 v4, 4, v0                                // 000000002CAC: 20080084
	v_mul_lo_u32 v20, 34, v4                                   // 000000002CB0: D2850014 000208A2
	v_and_b32_e32 v4, 15, v0                                   // 000000002CB8: 2608008F
	v_mul_lo_u32 v5, 2, v4                                     // 000000002CBC: D2850005 00020882
	v_add_u32_e32 v20, v5, v20                                 // 000000002CC4: 68282905
	s_mul_i32 s60, s7, 0x88                                    // 000000002CC8: 923CFF07 00000088
	v_add_u32_e32 v20, s60, v20                                // 000000002CD0: 6828283C
	v_lshlrev_b32_e32 v20, 2, v20                              // 000000002CD4: 24282882
	v_and_b32_e32 v4, 31, v0                                   // 000000002CD8: 2608009F
	v_lshrrev_b32_e32 v4, 1, v4                                // 000000002CDC: 20080881
	v_mul_lo_u32 v21, 34, v4                                   // 000000002CE0: D2850015 000208A2
	v_lshrrev_b32_e32 v4, 5, v0                                // 000000002CE8: 20080085
	v_mul_lo_u32 v4, 8, v4                                     // 000000002CEC: D2850004 00020888
	v_add_u32_e32 v21, v21, v4                                 // 000000002CF4: 682A0915
	v_and_b32_e32 v5, 1, v0                                    // 000000002CF8: 260A0081
	v_add_u32_e32 v21, v5, v21                                 // 000000002CFC: 682A2B05
	s_mul_i32 s60, s7, 2                                       // 000000002D00: 923C8207
	v_add_u32_e32 v21, s60, v21                                // 000000002D04: 682A2A3C
	v_lshlrev_b32_e32 v21, 2, v21                              // 000000002D08: 242A2A82
	s_mul_i32 s60, s7, 0x220                                   // 000000002D0C: 923CFF07 00000220
	s_add_u32 s48, 0, s60                                      // 000000002D14: 80303C80
	s_add_u32 s49, 0x880, s48                                  // 000000002D18: 803130FF 00000880
	s_add_u32 s50, 0x880, s49                                  // 000000002D20: 803231FF 00000880
	v_lshrrev_b32_e32 v4, 4, v0                                // 000000002D28: 20080084
	v_lshlrev_b32_e32 v5, 2, v4                                // 000000002D2C: 240A0882
	v_and_b32_e32 v4, 15, v0                                   // 000000002D30: 2608008F
	v_lshrrev_b32_e32 v6, 2, v4                                // 000000002D34: 200C0882
	v_lshlrev_b32_e32 v6, 5, v6                                // 000000002D38: 240C0C85
	v_add_u32_e32 v5, v6, v5                                   // 000000002D3C: 680A0B06
	v_and_b32_e32 v4, 3, v0                                    // 000000002D40: 26080083
	v_mul_u32_u24_e32 v6, 0x88, v4                             // 000000002D44: 100C08FF 00000088
	v_add_u32_e32 v5, v6, v5                                   // 000000002D4C: 680A0B06
	v_lshlrev_b32_e32 v2, 2, v5                                // 000000002D50: 24040A82
	s_waitcnt lgkmcnt(0)                                       // 000000002D54: BF8CC07F
	s_mul_i32 s60, s2, 0x80                                    // 000000002D58: 923CFF02 00000080
	s_mul_i32 s60, s60, s69                                    // 000000002D60: 923C453C
	s_mul_i32 s61, s5, s72                                     // 000000002D64: 923D4805
	s_add_u32 s60, s61, s60                                    // 000000002D68: 803C3C3D
	s_add_u32 s24, s60, s24                                    // 000000002D6C: 8018183C
	s_addc_u32 s25, 0, s25                                     // 000000002D70: 82191980
	s_lshr_b32 s60, s64, s88                                   // 000000002D74: 8F3C5840
	s_mul_i32 s60, s4, s60                                     // 000000002D78: 923C3C04
	s_lshr_b32 s60, s60, 7                                     // 000000002D7C: 8F3C873C
	s_mul_i32 s60, s60, 0x800                                  // 000000002D80: 923CFF3C 00000800
	s_add_u32 s24, s60, s24                                    // 000000002D88: 8018183C
	s_addc_u32 s25, 0, s25                                     // 000000002D8C: 82191980
	s_lshr_b32 s60, s69, s88                                   // 000000002D90: 8F3C5845
	s_mul_i32 s60, s4, s60                                     // 000000002D94: 923C3C04
	s_add_u32 s20, s60, s20                                    // 000000002D98: 8014143C
	s_addc_u32 s21, 0, s21                                     // 000000002D9C: 82151580
	s_mul_i32 s60, s7, 16                                      // 000000002DA0: 923C9007
	s_mul_i32 s60, s60, s69                                    // 000000002DA4: 923C453C
	v_lshlrev_b32_e32 v36, 4, v0                               // 000000002DA8: 24480084
	v_add_u32_e32 v36, s60, v36                                // 000000002DAC: 6848483C
	s_mul_i32 s60, 64, s69                                     // 000000002DB0: 923C45C0
	v_add_u32_e32 v37, s60, v36                                // 000000002DB4: 684A483C
	s_mov_b32 s84, s24                                         // 000000002DB8: BED40018
	s_mov_b32 s85, s25                                         // 000000002DBC: BED50019
	s_mov_b32 s86, s26                                         // 000000002DC0: BED6001A
	s_mov_b32 s87, s27                                         // 000000002DC4: BED7001B
	s_mul_i32 s60, s69, s65                                    // 000000002DC8: 923C4145
	s_add_u32 s84, s60, s84                                    // 000000002DCC: 8054543C
	s_addc_u32 s85, 0, s85                                     // 000000002DD0: 82555580
	v_lshrrev_b32_e32 v4, 4, v0                                // 000000002DD4: 20080084
	v_lshlrev_b32_e32 v5, 2, v4                                // 000000002DD8: 240A0882
	v_and_b32_e32 v4, 15, v0                                   // 000000002DDC: 2608008F
	v_lshrrev_b32_e32 v6, 2, v4                                // 000000002DE0: 200C0882
	v_lshlrev_b32_e32 v6, 6, v6                                // 000000002DE4: 240C0C86
	v_add_u32_e32 v5, v6, v5                                   // 000000002DE8: 680A0B06
	v_and_b32_e32 v4, 3, v0                                    // 000000002DEC: 26080083
	v_add_u32_e32 v5, v4, v5                                   // 000000002DF0: 680A0B04
	v_lshlrev_b32_e32 v22, 2, v5                               // 000000002DF4: 242C0A82
	s_mul_i32 s60, s7, 16                                      // 000000002DF8: 923C9007
	s_mul_i32 s60, s60, 4                                      // 000000002DFC: 923C843C
	v_add_u32_e32 v22, s60, v22                                // 000000002E00: 682C2C3C
	s_mul_i32 s60, s2, 0x80                                    // 000000002E04: 923CFF02 00000080
	s_mul_i32 s60, s60, 4                                      // 000000002E0C: 923C843C
	s_mul_i32 s61, s5, s74                                     // 000000002E10: 923D4A05
	s_add_u32 s61, s61, s60                                    // 000000002E14: 803D3C3D
	s_add_u32 s32, s61, s32                                    // 000000002E18: 8020203D
	s_addc_u32 s33, 0, s33                                     // 000000002E1C: 82212180
	s_mov_b32 s57, 0x80                                        // 000000002E20: BEB900FF 00000080
	s_mov_b32 s58, 0x800                                       // 000000002E28: BEBA00FF 00000800
	s_mov_b32 s83, s58                                         // 000000002E30: BED3003A
	s_mov_b32 s52, 0x7060302                                   // 000000002E34: BEB400FF 07060302
	s_mov_b32 s53, 0x400                                       // 000000002E3C: BEB500FF 00000400
	s_mov_b32 s54, 0x40100                                     // 000000002E44: BEB600FF 00040100
	s_mov_b32 s55, 0x4020100                                   // 000000002E4C: BEB700FF 04020100
	s_mov_b32 s6, 0x3fb8aa3b                                   // 000000002E54: BE8600FF 3FB8AA3B
	s_mov_b32 s78, 0xbd92220c                                  // 000000002E5C: BECE00FF BD92220C
	s_mov_b32 s79, 0xbd92220c                                  // 000000002E64: BECF00FF BD92220C
	s_mov_b32 m0, s48                                          // 000000002E6C: BEFC0030
	v_mov_b32_e32 v1, 0xbfcc4231                               // 000000002E70: 7E0202FF BFCC4231
	v_mov_b32_e32 v17, 0xffff0000                              // 000000002E78: 7E2202FF FFFF0000
	v_mov_b32_e32 v18, 0x7fff0000                              // 000000002E80: 7E2402FF 7FFF0000
	v_mov_b32_e32 v19, 0x7fff                                  // 000000002E88: 7E2602FF 00007FFF
	s_waitcnt vmcnt(0) expcnt(0) lgkmcnt(0)                    // 000000002E90: BF8C0000
	v_lshrrev_b32_e32 v4, 5, v0                                // 000000002E94: 20080085
	v_xor_b32_e32 v5, 1, v4                                    // 000000002E98: 2A0A0881
	v_readlane_b32 s82, v3, 0                                  // 000000002E9C: D2890052 00010103
	s_and_b32 s82, s82, 0xffffff                               // 000000002EA4: 8652FF52 00FFFFFF
	v_mul_lo_u32 v6, v5, s82                                   // 000000002EAC: D2850006 0000A505
	v_readlane_b32 s82, v3, 1                                  // 000000002EB4: D2890052 00010303
	s_and_b32 s82, s82, 0xffffff                               // 000000002EBC: 8652FF52 00FFFFFF
	v_mul_lo_u32 v7, v4, s82                                   // 000000002EC4: D2850007 0000A504
	v_add_u32_e32 v34, v6, v7                                  // 000000002ECC: 68440F06
	v_mul_lo_u32 v34, v34, s68                                 // 000000002ED0: D2850022 00008922
	v_readlane_b32 s82, v3, 2                                  // 000000002ED8: D2890052 00010503
	s_and_b32 s82, s82, 0xffffff                               // 000000002EE0: 8652FF52 00FFFFFF
	v_mul_lo_u32 v6, v5, s82                                   // 000000002EE8: D2850006 0000A505
	v_readlane_b32 s82, v3, 3                                  // 000000002EF0: D2890052 00010703
	s_and_b32 s82, s82, 0xffffff                               // 000000002EF8: 8652FF52 00FFFFFF
	v_mul_lo_u32 v7, v4, s82                                   // 000000002F00: D2850007 0000A504
	v_add_u32_e32 v35, v6, v7                                  // 000000002F08: 68460F06
	v_mul_lo_u32 v35, v35, s68                                 // 000000002F0C: D2850023 00008923
	v_and_b32_e32 v4, 31, v0                                   // 000000002F14: 2608009F
	v_lshlrev_b32_e32 v4, 2, v4                                // 000000002F18: 24080882
	v_add_u32_e32 v34, v34, v4                                 // 000000002F1C: 68440922
	v_add_u32_e32 v35, v35, v4                                 // 000000002F20: 68460923
	v_and_b32_e32 v30, 0xffffff, v30                           // 000000002F24: 263C3CFF 00FFFFFF
	v_lshlrev_b32_e32 v30, 2, v30                              // 000000002F2C: 243C3C82
	s_lshl_b32 s3, s66, 2                                      // 000000002F30: 8E038242
	buffer_load_dword v31, v30, s[28:31], 0 offen              // 000000002F34: E0501000 80071F1E
	buffer_load_dword v24, v22, s[32:35], 0 offen              // 000000002F3C: E0501000 80081816
	s_mul_i32 s60, 4, s65                                      // 000000002F44: 923C4184
	s_add_u32 s32, s60, s32                                    // 000000002F48: 8020203C
	s_addc_u32 s33, 0, s33                                     // 000000002F4C: 82212180
	buffer_load_dword v27, v22, s[32:35], 0 offen              // 000000002F50: E0501000 80081B16
	buffer_load_dword v34, s[20:23], 0 offen lds               // 000000002F58: E0511000 80050022
	s_add_u32 m0, 0x100, s48                                   // 000000002F60: 807C30FF 00000100
	buffer_load_dword v35, s[20:23], 0 offen lds               // 000000002F68: E0511000 80050023
	s_add_u32 m0, 0, s49                                       // 000000002F70: 807C3180
	s_add_u32 s20, s57, s20                                    // 000000002F74: 80141439
	s_addc_u32 s21, 0, s21                                     // 000000002F78: 82151580
	buffer_load_dwordx4 a[16:19], v36, s[24:27], 0 offen       // 000000002F7C: E05C1000 80861024
	buffer_load_dwordx4 a[20:23], v36, s[24:27], 0 offen offset:1024// 000000002F84: E05C1400 80861424
	buffer_load_dwordx4 a[24:27], v37, s[24:27], 0 offen       // 000000002F8C: E05C1000 80861825
	buffer_load_dwordx4 a[28:31], v37, s[24:27], 0 offen offset:1024// 000000002F94: E05C1400 80861C25
	s_add_u32 s24, s58, s24                                    // 000000002F9C: 8018183A
	s_addc_u32 s25, 0, s25                                     // 000000002FA0: 82191980
	buffer_load_dword v34, s[20:23], 0 offen lds               // 000000002FA4: E0511000 80050022
	s_add_u32 m0, 0x100, s49                                   // 000000002FAC: 807C31FF 00000100
	buffer_load_dword v35, s[20:23], 0 offen lds               // 000000002FB4: E0511000 80050023
	s_add_u32 m0, 0, s50                                       // 000000002FBC: 807C3280
	s_add_u32 s20, s57, s20                                    // 000000002FC0: 80141439
	s_addc_u32 s21, 0, s21                                     // 000000002FC4: 82151580
	buffer_load_dwordx4 a[32:35], v36, s[84:87], 0 offen       // 000000002FC8: E05C1000 80952024
	buffer_load_dwordx4 a[36:39], v36, s[84:87], 0 offen offset:1024// 000000002FD0: E05C1400 80952424
	buffer_load_dwordx4 a[40:43], v37, s[84:87], 0 offen       // 000000002FD8: E05C1000 80952825
	buffer_load_dwordx4 a[44:47], v37, s[84:87], 0 offen offset:1024// 000000002FE0: E05C1400 80952C25
	s_add_u32 s84, s83, s84                                    // 000000002FE8: 80545453
	s_addc_u32 s85, 0, s85                                     // 000000002FEC: 82555580
	s_waitcnt vmcnt(10)                                        // 000000002FF0: BF8C0F7A
	s_barrier                                                  // 000000002FF4: BF8A0000
	ds_read_b128 a[0:3], v2                                    // 000000002FF8: DBFE0000 00000002
	ds_read_b128 a[4:7], v2 offset:64                          // 000000003000: DBFE0040 04000002
	s_cmp_lt_i32 s7, 2                                         // 000000003008: BF048207
	s_cbranch_scc0 label_062D                                  // 00000000300C: BF8404A6

0000000000003010 <label_0184>:
	s_waitcnt vmcnt(6) lgkmcnt(0)                              // 000000003010: BF8C0076
	v_mfma_i32_16x16x32_i8 v[40:43], a[16:17], a[0:1], v[40:43]// 000000003014: D3D70028 1CA20110
	v_mfma_i32_16x16x32_i8 v[40:43], a[18:19], a[2:3], v[40:43]// 00000000301C: D3D70028 1CA20512
	buffer_load_dwordx4 a[48:51], v36, s[24:27], 0 offen       // 000000003024: E05C1000 80863024
	v_mfma_i32_16x16x32_i8 v[40:43], a[20:21], a[4:5], v[40:43]// 00000000302C: D3D70028 1CA20914
	v_mfma_i32_16x16x32_i8 v[40:43], a[22:23], a[6:7], v[40:43]// 000000003034: D3D70028 1CA20D16
	v_mfma_i32_16x16x32_i8 v[44:47], a[24:25], a[0:1], v[44:47]// 00000000303C: D3D7002C 1CB20118
	v_mfma_i32_16x16x32_i8 v[44:47], a[26:27], a[2:3], v[44:47]// 000000003044: D3D7002C 1CB2051A
	buffer_load_dwordx4 a[52:55], v36, s[24:27], 0 offen offset:1024// 00000000304C: E05C1400 80863424
	v_mfma_i32_16x16x32_i8 v[44:47], a[28:29], a[4:5], v[44:47]// 000000003054: D3D7002C 1CB2091C
	v_mfma_i32_16x16x32_i8 v[44:47], a[30:31], a[6:7], v[44:47]// 00000000305C: D3D7002C 1CB20D1E
	buffer_load_dwordx4 a[56:59], v37, s[24:27], 0 offen       // 000000003064: E05C1000 80863825
	buffer_load_dwordx4 a[60:63], v37, s[24:27], 0 offen offset:1024// 00000000306C: E05C1400 80863C25
	buffer_load_dword v34, s[20:23], 0 offen lds               // 000000003074: E0511000 80050022
	s_add_u32 m0, 0x100, s50                                   // 00000000307C: 807C32FF 00000100
	buffer_load_dword v35, s[20:23], 0 offen lds               // 000000003084: E0511000 80050023
	s_add_u32 m0, 0, s48                                       // 00000000308C: 807C3080
	s_waitcnt vmcnt(6)                                         // 000000003090: BF8C0F76
	s_barrier                                                  // 000000003094: BF8A0000
	v_mfma_i32_16x16x32_i8 v[48:51], a[32:33], a[0:1], v[48:51]// 000000003098: D3D70030 1CC20120
	s_add_u32 s60, 0x180, s80                                  // 0000000030A0: 803C50FF 00000180
	s_cmp_lt_u32 s60, s81                                      // 0000000030A8: BF0A513C
	s_cselect_b32 s57, s57, 0                                  // 0000000030AC: 85398039
	v_mfma_i32_16x16x32_i8 v[48:51], a[34:35], a[2:3], v[48:51]// 0000000030B0: D3D70030 1CC20522
	buffer_load_dwordx4 a[16:19], v36, s[84:87], 0 offen       // 0000000030B8: E05C1000 80951024
	s_add_u32 s60, 0x100, s80                                  // 0000000030C0: 803C50FF 00000100
	s_cmp_lt_u32 s60, s81                                      // 0000000030C8: BF0A513C
	s_cselect_b32 s58, s58, 0                                  // 0000000030CC: 853A803A
	v_mfma_i32_16x16x32_i8 v[48:51], a[36:37], a[4:5], v[48:51]// 0000000030D0: D3D70030 1CC20924
	s_add_u32 s60, 0x100, s80                                  // 0000000030D8: 803C50FF 00000100
	s_cmp_lt_u32 s60, s81                                      // 0000000030E0: BF0A513C
	s_cselect_b32 s83, s83, 0                                  // 0000000030E4: 85538053
	v_mfma_i32_16x16x32_i8 v[48:51], a[38:39], a[6:7], v[48:51]// 0000000030E8: D3D70030 1CC20D26
	ds_read_b128 a[8:11], v2 offset:2176                       // 0000000030F0: DBFE0880 08000002
	ds_read_b128 a[12:15], v2 offset:2240                      // 0000000030F8: DBFE08C0 0C000002
	s_add_u32 s24, s58, s24                                    // 000000003100: 8018183A
	s_addc_u32 s25, 0, s25                                     // 000000003104: 82191980
	v_mfma_i32_16x16x32_i8 v[52:55], a[40:41], a[0:1], v[52:55]// 000000003108: D3D70034 1CD20128
	s_add_u32 s20, s57, s20                                    // 000000003110: 80141439
	s_addc_u32 s21, 0, s21                                     // 000000003114: 82151580
	v_mfma_i32_16x16x32_i8 v[52:55], a[42:43], a[2:3], v[52:55]// 000000003118: D3D70034 1CD2052A
	buffer_load_dwordx4 a[20:23], v36, s[84:87], 0 offen offset:1024// 000000003120: E05C1400 80951424
	v_mfma_i32_16x16x32_i8 v[52:55], a[44:45], a[4:5], v[52:55]// 000000003128: D3D70034 1CD2092C
	v_mfma_i32_16x16x32_i8 v[52:55], a[46:47], a[6:7], v[52:55]// 000000003130: D3D70034 1CD20D2E
	buffer_load_dwordx4 a[24:27], v37, s[84:87], 0 offen       // 000000003138: E05C1000 80951825
	buffer_load_dwordx4 a[28:31], v37, s[84:87], 0 offen offset:1024// 000000003140: E05C1400 80951C25
	s_add_u32 s84, s83, s84                                    // 000000003148: 80545453
	s_addc_u32 s85, 0, s85                                     // 00000000314C: 82555580
	s_addk_i32 s80, 0x80                                       // 000000003150: B7500080
	s_cmp_lt_i32 s80, s81                                      // 000000003154: BF045150
	s_cbranch_scc0 label_0377                                  // 000000003158: BF8401A0
	s_waitcnt vmcnt(6) lgkmcnt(0)                              // 00000000315C: BF8C0076
	v_mfma_i32_16x16x32_i8 v[40:43], a[48:49], a[8:9], v[40:43]// 000000003160: D3D70028 1CA21130
	v_mfma_i32_16x16x32_i8 v[40:43], a[50:51], a[10:11], v[40:43]// 000000003168: D3D70028 1CA21532
	buffer_load_dwordx4 a[32:35], v36, s[24:27], 0 offen       // 000000003170: E05C1000 80862024
	v_mfma_i32_16x16x32_i8 v[40:43], a[52:53], a[12:13], v[40:43]// 000000003178: D3D70028 1CA21934
	v_mfma_i32_16x16x32_i8 v[40:43], a[54:55], a[14:15], v[40:43]// 000000003180: D3D70028 1CA21D36
	v_mfma_i32_16x16x32_i8 v[44:47], a[56:57], a[8:9], v[44:47]// 000000003188: D3D7002C 1CB21138
	v_mfma_i32_16x16x32_i8 v[44:47], a[58:59], a[10:11], v[44:47]// 000000003190: D3D7002C 1CB2153A
	buffer_load_dwordx4 a[36:39], v36, s[24:27], 0 offen offset:1024// 000000003198: E05C1400 80862424
	v_mfma_i32_16x16x32_i8 v[44:47], a[60:61], a[12:13], v[44:47]// 0000000031A0: D3D7002C 1CB2193C
	v_mfma_i32_16x16x32_i8 v[44:47], a[62:63], a[14:15], v[44:47]// 0000000031A8: D3D7002C 1CB21D3E
	buffer_load_dwordx4 a[40:43], v37, s[24:27], 0 offen       // 0000000031B0: E05C1000 80862825
	buffer_load_dwordx4 a[44:47], v37, s[24:27], 0 offen offset:1024// 0000000031B8: E05C1400 80862C25
	buffer_load_dword v34, s[20:23], 0 offen lds               // 0000000031C0: E0511000 80050022
	s_add_u32 m0, 0x100, s48                                   // 0000000031C8: 807C30FF 00000100
	buffer_load_dword v35, s[20:23], 0 offen lds               // 0000000031D0: E0511000 80050023
	s_add_u32 m0, 0, s49                                       // 0000000031D8: 807C3180
	s_waitcnt vmcnt(6)                                         // 0000000031DC: BF8C0F76
	s_barrier                                                  // 0000000031E0: BF8A0000
	v_mfma_i32_16x16x32_i8 v[48:51], a[16:17], a[8:9], v[48:51]// 0000000031E4: D3D70030 1CC21110
	s_add_u32 s60, 0x180, s80                                  // 0000000031EC: 803C50FF 00000180
	s_cmp_lt_u32 s60, s81                                      // 0000000031F4: BF0A513C
	s_cselect_b32 s57, s57, 0                                  // 0000000031F8: 85398039
	v_mfma_i32_16x16x32_i8 v[48:51], a[18:19], a[10:11], v[48:51]// 0000000031FC: D3D70030 1CC21512
	buffer_load_dwordx4 a[48:51], v36, s[84:87], 0 offen       // 000000003204: E05C1000 80953024
	s_add_u32 s60, 0x100, s80                                  // 00000000320C: 803C50FF 00000100
	s_cmp_lt_u32 s60, s81                                      // 000000003214: BF0A513C
	s_cselect_b32 s58, s58, 0                                  // 000000003218: 853A803A
	v_mfma_i32_16x16x32_i8 v[48:51], a[20:21], a[12:13], v[48:51]// 00000000321C: D3D70030 1CC21914
	s_add_u32 s60, 0x100, s80                                  // 000000003224: 803C50FF 00000100
	s_cmp_lt_u32 s60, s81                                      // 00000000322C: BF0A513C
	s_cselect_b32 s83, s83, 0                                  // 000000003230: 85538053
	v_mfma_i32_16x16x32_i8 v[48:51], a[22:23], a[14:15], v[48:51]// 000000003234: D3D70030 1CC21D16
	ds_read_b128 a[0:3], v2 offset:4352                        // 00000000323C: DBFE1100 00000002
	ds_read_b128 a[4:7], v2 offset:4416                        // 000000003244: DBFE1140 04000002
	s_add_u32 s24, s58, s24                                    // 00000000324C: 8018183A
	s_addc_u32 s25, 0, s25                                     // 000000003250: 82191980
	v_mfma_i32_16x16x32_i8 v[52:55], a[24:25], a[8:9], v[52:55]// 000000003254: D3D70034 1CD21118
	s_add_u32 s20, s57, s20                                    // 00000000325C: 80141439
	s_addc_u32 s21, 0, s21                                     // 000000003260: 82151580
	v_mfma_i32_16x16x32_i8 v[52:55], a[26:27], a[10:11], v[52:55]// 000000003264: D3D70034 1CD2151A
	buffer_load_dwordx4 a[52:55], v36, s[84:87], 0 offen offset:1024// 00000000326C: E05C1400 80953424
	v_mfma_i32_16x16x32_i8 v[52:55], a[28:29], a[12:13], v[52:55]// 000000003274: D3D70034 1CD2191C
	v_mfma_i32_16x16x32_i8 v[52:55], a[30:31], a[14:15], v[52:55]// 00000000327C: D3D70034 1CD21D1E
	buffer_load_dwordx4 a[56:59], v37, s[84:87], 0 offen       // 000000003284: E05C1000 80953825
	buffer_load_dwordx4 a[60:63], v37, s[84:87], 0 offen offset:1024// 00000000328C: E05C1400 80953C25
	s_add_u32 s84, s83, s84                                    // 000000003294: 80545453
	s_addc_u32 s85, 0, s85                                     // 000000003298: 82555580
	s_addk_i32 s80, 0x80                                       // 00000000329C: B7500080
	s_cmp_lt_i32 s80, s81                                      // 0000000032A0: BF045150
	s_cbranch_scc0 label_0377                                  // 0000000032A4: BF84014D
	s_waitcnt vmcnt(6) lgkmcnt(0)                              // 0000000032A8: BF8C0076
	v_mfma_i32_16x16x32_i8 v[40:43], a[32:33], a[0:1], v[40:43]// 0000000032AC: D3D70028 1CA20120
	v_mfma_i32_16x16x32_i8 v[40:43], a[34:35], a[2:3], v[40:43]// 0000000032B4: D3D70028 1CA20522
	buffer_load_dwordx4 a[16:19], v36, s[24:27], 0 offen       // 0000000032BC: E05C1000 80861024
	v_mfma_i32_16x16x32_i8 v[40:43], a[36:37], a[4:5], v[40:43]// 0000000032C4: D3D70028 1CA20924
	v_mfma_i32_16x16x32_i8 v[40:43], a[38:39], a[6:7], v[40:43]// 0000000032CC: D3D70028 1CA20D26
	v_mfma_i32_16x16x32_i8 v[44:47], a[40:41], a[0:1], v[44:47]// 0000000032D4: D3D7002C 1CB20128
	v_mfma_i32_16x16x32_i8 v[44:47], a[42:43], a[2:3], v[44:47]// 0000000032DC: D3D7002C 1CB2052A
	buffer_load_dwordx4 a[20:23], v36, s[24:27], 0 offen offset:1024// 0000000032E4: E05C1400 80861424
	v_mfma_i32_16x16x32_i8 v[44:47], a[44:45], a[4:5], v[44:47]// 0000000032EC: D3D7002C 1CB2092C
	v_mfma_i32_16x16x32_i8 v[44:47], a[46:47], a[6:7], v[44:47]// 0000000032F4: D3D7002C 1CB20D2E
	buffer_load_dwordx4 a[24:27], v37, s[24:27], 0 offen       // 0000000032FC: E05C1000 80861825
	buffer_load_dwordx4 a[28:31], v37, s[24:27], 0 offen offset:1024// 000000003304: E05C1400 80861C25
	buffer_load_dword v34, s[20:23], 0 offen lds               // 00000000330C: E0511000 80050022
	s_add_u32 m0, 0x100, s49                                   // 000000003314: 807C31FF 00000100
	buffer_load_dword v35, s[20:23], 0 offen lds               // 00000000331C: E0511000 80050023
	s_add_u32 m0, 0, s50                                       // 000000003324: 807C3280
	s_waitcnt vmcnt(6)                                         // 000000003328: BF8C0F76
	s_barrier                                                  // 00000000332C: BF8A0000
	v_mfma_i32_16x16x32_i8 v[48:51], a[48:49], a[0:1], v[48:51]// 000000003330: D3D70030 1CC20130
	s_add_u32 s60, 0x180, s80                                  // 000000003338: 803C50FF 00000180
	s_cmp_lt_u32 s60, s81                                      // 000000003340: BF0A513C
	s_cselect_b32 s57, s57, 0                                  // 000000003344: 85398039
	v_mfma_i32_16x16x32_i8 v[48:51], a[50:51], a[2:3], v[48:51]// 000000003348: D3D70030 1CC20532
	buffer_load_dwordx4 a[32:35], v36, s[84:87], 0 offen       // 000000003350: E05C1000 80952024
	s_add_u32 s60, 0x100, s80                                  // 000000003358: 803C50FF 00000100
	s_cmp_lt_u32 s60, s81                                      // 000000003360: BF0A513C
	s_cselect_b32 s58, s58, 0                                  // 000000003364: 853A803A
	v_mfma_i32_16x16x32_i8 v[48:51], a[52:53], a[4:5], v[48:51]// 000000003368: D3D70030 1CC20934
	s_add_u32 s60, 0x100, s80                                  // 000000003370: 803C50FF 00000100
	s_cmp_lt_u32 s60, s81                                      // 000000003378: BF0A513C
	s_cselect_b32 s83, s83, 0                                  // 00000000337C: 85538053
	v_mfma_i32_16x16x32_i8 v[48:51], a[54:55], a[6:7], v[48:51]// 000000003380: D3D70030 1CC20D36
	ds_read_b128 a[8:11], v2                                   // 000000003388: DBFE0000 08000002
	ds_read_b128 a[12:15], v2 offset:64                        // 000000003390: DBFE0040 0C000002
	s_add_u32 s24, s58, s24                                    // 000000003398: 8018183A
	s_addc_u32 s25, 0, s25                                     // 00000000339C: 82191980
	v_mfma_i32_16x16x32_i8 v[52:55], a[56:57], a[0:1], v[52:55]// 0000000033A0: D3D70034 1CD20138
	s_add_u32 s20, s57, s20                                    // 0000000033A8: 80141439
	s_addc_u32 s21, 0, s21                                     // 0000000033AC: 82151580
	v_mfma_i32_16x16x32_i8 v[52:55], a[58:59], a[2:3], v[52:55]// 0000000033B0: D3D70034 1CD2053A
	buffer_load_dwordx4 a[36:39], v36, s[84:87], 0 offen offset:1024// 0000000033B8: E05C1400 80952424
	v_mfma_i32_16x16x32_i8 v[52:55], a[60:61], a[4:5], v[52:55]// 0000000033C0: D3D70034 1CD2093C
	v_mfma_i32_16x16x32_i8 v[52:55], a[62:63], a[6:7], v[52:55]// 0000000033C8: D3D70034 1CD20D3E
	buffer_load_dwordx4 a[40:43], v37, s[84:87], 0 offen       // 0000000033D0: E05C1000 80952825
	buffer_load_dwordx4 a[44:47], v37, s[84:87], 0 offen offset:1024// 0000000033D8: E05C1400 80952C25
	s_add_u32 s84, s83, s84                                    // 0000000033E0: 80545453
	s_addc_u32 s85, 0, s85                                     // 0000000033E4: 82555580
	s_addk_i32 s80, 0x80                                       // 0000000033E8: B7500080
	s_cmp_lt_i32 s80, s81                                      // 0000000033EC: BF045150
	s_cbranch_scc0 label_0377                                  // 0000000033F0: BF8400FA
	s_waitcnt vmcnt(6) lgkmcnt(0)                              // 0000000033F4: BF8C0076
	v_mfma_i32_16x16x32_i8 v[40:43], a[16:17], a[8:9], v[40:43]// 0000000033F8: D3D70028 1CA21110
	v_mfma_i32_16x16x32_i8 v[40:43], a[18:19], a[10:11], v[40:43]// 000000003400: D3D70028 1CA21512
	buffer_load_dwordx4 a[48:51], v36, s[24:27], 0 offen       // 000000003408: E05C1000 80863024
	v_mfma_i32_16x16x32_i8 v[40:43], a[20:21], a[12:13], v[40:43]// 000000003410: D3D70028 1CA21914
	v_mfma_i32_16x16x32_i8 v[40:43], a[22:23], a[14:15], v[40:43]// 000000003418: D3D70028 1CA21D16
	v_mfma_i32_16x16x32_i8 v[44:47], a[24:25], a[8:9], v[44:47]// 000000003420: D3D7002C 1CB21118
	v_mfma_i32_16x16x32_i8 v[44:47], a[26:27], a[10:11], v[44:47]// 000000003428: D3D7002C 1CB2151A
	buffer_load_dwordx4 a[52:55], v36, s[24:27], 0 offen offset:1024// 000000003430: E05C1400 80863424
	v_mfma_i32_16x16x32_i8 v[44:47], a[28:29], a[12:13], v[44:47]// 000000003438: D3D7002C 1CB2191C
	v_mfma_i32_16x16x32_i8 v[44:47], a[30:31], a[14:15], v[44:47]// 000000003440: D3D7002C 1CB21D1E
	buffer_load_dwordx4 a[56:59], v37, s[24:27], 0 offen       // 000000003448: E05C1000 80863825
	buffer_load_dwordx4 a[60:63], v37, s[24:27], 0 offen offset:1024// 000000003450: E05C1400 80863C25
	buffer_load_dword v34, s[20:23], 0 offen lds               // 000000003458: E0511000 80050022
	s_add_u32 m0, 0x100, s50                                   // 000000003460: 807C32FF 00000100
	buffer_load_dword v35, s[20:23], 0 offen lds               // 000000003468: E0511000 80050023
	s_add_u32 m0, 0, s48                                       // 000000003470: 807C3080
	s_waitcnt vmcnt(6)                                         // 000000003474: BF8C0F76
	s_barrier                                                  // 000000003478: BF8A0000
	v_mfma_i32_16x16x32_i8 v[48:51], a[32:33], a[8:9], v[48:51]// 00000000347C: D3D70030 1CC21120
	s_add_u32 s60, 0x180, s80                                  // 000000003484: 803C50FF 00000180
	s_cmp_lt_u32 s60, s81                                      // 00000000348C: BF0A513C
	s_cselect_b32 s57, s57, 0                                  // 000000003490: 85398039
	v_mfma_i32_16x16x32_i8 v[48:51], a[34:35], a[10:11], v[48:51]// 000000003494: D3D70030 1CC21522
	buffer_load_dwordx4 a[16:19], v36, s[84:87], 0 offen       // 00000000349C: E05C1000 80951024
	s_add_u32 s60, 0x100, s80                                  // 0000000034A4: 803C50FF 00000100
	s_cmp_lt_u32 s60, s81                                      // 0000000034AC: BF0A513C
	s_cselect_b32 s58, s58, 0                                  // 0000000034B0: 853A803A
	v_mfma_i32_16x16x32_i8 v[48:51], a[36:37], a[12:13], v[48:51]// 0000000034B4: D3D70030 1CC21924
	s_add_u32 s60, 0x100, s80                                  // 0000000034BC: 803C50FF 00000100
	s_cmp_lt_u32 s60, s81                                      // 0000000034C4: BF0A513C
	s_cselect_b32 s83, s83, 0                                  // 0000000034C8: 85538053
	v_mfma_i32_16x16x32_i8 v[48:51], a[38:39], a[14:15], v[48:51]// 0000000034CC: D3D70030 1CC21D26
	ds_read_b128 a[0:3], v2 offset:2176                        // 0000000034D4: DBFE0880 00000002
	ds_read_b128 a[4:7], v2 offset:2240                        // 0000000034DC: DBFE08C0 04000002
	s_add_u32 s24, s58, s24                                    // 0000000034E4: 8018183A
	s_addc_u32 s25, 0, s25                                     // 0000000034E8: 82191980
	v_mfma_i32_16x16x32_i8 v[52:55], a[40:41], a[8:9], v[52:55]// 0000000034EC: D3D70034 1CD21128
	s_add_u32 s20, s57, s20                                    // 0000000034F4: 80141439
	s_addc_u32 s21, 0, s21                                     // 0000000034F8: 82151580
	v_mfma_i32_16x16x32_i8 v[52:55], a[42:43], a[10:11], v[52:55]// 0000000034FC: D3D70034 1CD2152A
	buffer_load_dwordx4 a[20:23], v36, s[84:87], 0 offen offset:1024// 000000003504: E05C1400 80951424
	v_mfma_i32_16x16x32_i8 v[52:55], a[44:45], a[12:13], v[52:55]// 00000000350C: D3D70034 1CD2192C
	v_mfma_i32_16x16x32_i8 v[52:55], a[46:47], a[14:15], v[52:55]// 000000003514: D3D70034 1CD21D2E
	buffer_load_dwordx4 a[24:27], v37, s[84:87], 0 offen       // 00000000351C: E05C1000 80951825
	buffer_load_dwordx4 a[28:31], v37, s[84:87], 0 offen offset:1024// 000000003524: E05C1400 80951C25
	s_add_u32 s84, s83, s84                                    // 00000000352C: 80545453
	s_addc_u32 s85, 0, s85                                     // 000000003530: 82555580
	s_addk_i32 s80, 0x80                                       // 000000003534: B7500080
	s_cmp_lt_i32 s80, s81                                      // 000000003538: BF045150
	s_cbranch_scc0 label_0377                                  // 00000000353C: BF8400A7
	s_waitcnt vmcnt(6) lgkmcnt(0)                              // 000000003540: BF8C0076
	v_mfma_i32_16x16x32_i8 v[40:43], a[48:49], a[0:1], v[40:43]// 000000003544: D3D70028 1CA20130
	v_mfma_i32_16x16x32_i8 v[40:43], a[50:51], a[2:3], v[40:43]// 00000000354C: D3D70028 1CA20532
	buffer_load_dwordx4 a[32:35], v36, s[24:27], 0 offen       // 000000003554: E05C1000 80862024
	v_mfma_i32_16x16x32_i8 v[40:43], a[52:53], a[4:5], v[40:43]// 00000000355C: D3D70028 1CA20934
	v_mfma_i32_16x16x32_i8 v[40:43], a[54:55], a[6:7], v[40:43]// 000000003564: D3D70028 1CA20D36
	v_mfma_i32_16x16x32_i8 v[44:47], a[56:57], a[0:1], v[44:47]// 00000000356C: D3D7002C 1CB20138
	v_mfma_i32_16x16x32_i8 v[44:47], a[58:59], a[2:3], v[44:47]// 000000003574: D3D7002C 1CB2053A
	buffer_load_dwordx4 a[36:39], v36, s[24:27], 0 offen offset:1024// 00000000357C: E05C1400 80862424
	v_mfma_i32_16x16x32_i8 v[44:47], a[60:61], a[4:5], v[44:47]// 000000003584: D3D7002C 1CB2093C
	v_mfma_i32_16x16x32_i8 v[44:47], a[62:63], a[6:7], v[44:47]// 00000000358C: D3D7002C 1CB20D3E
	buffer_load_dwordx4 a[40:43], v37, s[24:27], 0 offen       // 000000003594: E05C1000 80862825
	buffer_load_dwordx4 a[44:47], v37, s[24:27], 0 offen offset:1024// 00000000359C: E05C1400 80862C25
	buffer_load_dword v34, s[20:23], 0 offen lds               // 0000000035A4: E0511000 80050022
	s_add_u32 m0, 0x100, s48                                   // 0000000035AC: 807C30FF 00000100
	buffer_load_dword v35, s[20:23], 0 offen lds               // 0000000035B4: E0511000 80050023
	s_add_u32 m0, 0, s49                                       // 0000000035BC: 807C3180
	s_waitcnt vmcnt(6)                                         // 0000000035C0: BF8C0F76
	s_barrier                                                  // 0000000035C4: BF8A0000
	v_mfma_i32_16x16x32_i8 v[48:51], a[16:17], a[0:1], v[48:51]// 0000000035C8: D3D70030 1CC20110
	s_add_u32 s60, 0x180, s80                                  // 0000000035D0: 803C50FF 00000180
	s_cmp_lt_u32 s60, s81                                      // 0000000035D8: BF0A513C
	s_cselect_b32 s57, s57, 0                                  // 0000000035DC: 85398039
	v_mfma_i32_16x16x32_i8 v[48:51], a[18:19], a[2:3], v[48:51]// 0000000035E0: D3D70030 1CC20512
	buffer_load_dwordx4 a[48:51], v36, s[84:87], 0 offen       // 0000000035E8: E05C1000 80953024
	s_add_u32 s60, 0x100, s80                                  // 0000000035F0: 803C50FF 00000100
	s_cmp_lt_u32 s60, s81                                      // 0000000035F8: BF0A513C
	s_cselect_b32 s58, s58, 0                                  // 0000000035FC: 853A803A
	v_mfma_i32_16x16x32_i8 v[48:51], a[20:21], a[4:5], v[48:51]// 000000003600: D3D70030 1CC20914
	s_add_u32 s60, 0x100, s80                                  // 000000003608: 803C50FF 00000100
	s_cmp_lt_u32 s60, s81                                      // 000000003610: BF0A513C
	s_cselect_b32 s83, s83, 0                                  // 000000003614: 85538053
	v_mfma_i32_16x16x32_i8 v[48:51], a[22:23], a[6:7], v[48:51]// 000000003618: D3D70030 1CC20D16
	ds_read_b128 a[8:11], v2 offset:4352                       // 000000003620: DBFE1100 08000002
	ds_read_b128 a[12:15], v2 offset:4416                      // 000000003628: DBFE1140 0C000002
	s_add_u32 s24, s58, s24                                    // 000000003630: 8018183A
	s_addc_u32 s25, 0, s25                                     // 000000003634: 82191980
	v_mfma_i32_16x16x32_i8 v[52:55], a[24:25], a[0:1], v[52:55]// 000000003638: D3D70034 1CD20118
	s_add_u32 s20, s57, s20                                    // 000000003640: 80141439
	s_addc_u32 s21, 0, s21                                     // 000000003644: 82151580
	v_mfma_i32_16x16x32_i8 v[52:55], a[26:27], a[2:3], v[52:55]// 000000003648: D3D70034 1CD2051A
	buffer_load_dwordx4 a[52:55], v36, s[84:87], 0 offen offset:1024// 000000003650: E05C1400 80953424
	v_mfma_i32_16x16x32_i8 v[52:55], a[28:29], a[4:5], v[52:55]// 000000003658: D3D70034 1CD2091C
	v_mfma_i32_16x16x32_i8 v[52:55], a[30:31], a[6:7], v[52:55]// 000000003660: D3D70034 1CD20D1E
	buffer_load_dwordx4 a[56:59], v37, s[84:87], 0 offen       // 000000003668: E05C1000 80953825
	buffer_load_dwordx4 a[60:63], v37, s[84:87], 0 offen offset:1024// 000000003670: E05C1400 80953C25
	s_add_u32 s84, s83, s84                                    // 000000003678: 80545453
	s_addc_u32 s85, 0, s85                                     // 00000000367C: 82555580
	s_addk_i32 s80, 0x80                                       // 000000003680: B7500080
	s_cmp_lt_i32 s80, s81                                      // 000000003684: BF045150
	s_cbranch_scc0 label_0377                                  // 000000003688: BF840054
	s_waitcnt vmcnt(6) lgkmcnt(0)                              // 00000000368C: BF8C0076
	v_mfma_i32_16x16x32_i8 v[40:43], a[32:33], a[8:9], v[40:43]// 000000003690: D3D70028 1CA21120
	v_mfma_i32_16x16x32_i8 v[40:43], a[34:35], a[10:11], v[40:43]// 000000003698: D3D70028 1CA21522
	buffer_load_dwordx4 a[16:19], v36, s[24:27], 0 offen       // 0000000036A0: E05C1000 80861024
	v_mfma_i32_16x16x32_i8 v[40:43], a[36:37], a[12:13], v[40:43]// 0000000036A8: D3D70028 1CA21924
	v_mfma_i32_16x16x32_i8 v[40:43], a[38:39], a[14:15], v[40:43]// 0000000036B0: D3D70028 1CA21D26
	v_mfma_i32_16x16x32_i8 v[44:47], a[40:41], a[8:9], v[44:47]// 0000000036B8: D3D7002C 1CB21128
	v_mfma_i32_16x16x32_i8 v[44:47], a[42:43], a[10:11], v[44:47]// 0000000036C0: D3D7002C 1CB2152A
	buffer_load_dwordx4 a[20:23], v36, s[24:27], 0 offen offset:1024// 0000000036C8: E05C1400 80861424
	v_mfma_i32_16x16x32_i8 v[44:47], a[44:45], a[12:13], v[44:47]// 0000000036D0: D3D7002C 1CB2192C
	v_mfma_i32_16x16x32_i8 v[44:47], a[46:47], a[14:15], v[44:47]// 0000000036D8: D3D7002C 1CB21D2E
	buffer_load_dwordx4 a[24:27], v37, s[24:27], 0 offen       // 0000000036E0: E05C1000 80861825
	buffer_load_dwordx4 a[28:31], v37, s[24:27], 0 offen offset:1024// 0000000036E8: E05C1400 80861C25
	buffer_load_dword v34, s[20:23], 0 offen lds               // 0000000036F0: E0511000 80050022
	s_add_u32 m0, 0x100, s49                                   // 0000000036F8: 807C31FF 00000100
	buffer_load_dword v35, s[20:23], 0 offen lds               // 000000003700: E0511000 80050023
	s_add_u32 m0, 0, s50                                       // 000000003708: 807C3280
	s_waitcnt vmcnt(6)                                         // 00000000370C: BF8C0F76
	s_barrier                                                  // 000000003710: BF8A0000
	v_mfma_i32_16x16x32_i8 v[48:51], a[48:49], a[8:9], v[48:51]// 000000003714: D3D70030 1CC21130
	s_add_u32 s60, 0x180, s80                                  // 00000000371C: 803C50FF 00000180
	s_cmp_lt_u32 s60, s81                                      // 000000003724: BF0A513C
	s_cselect_b32 s57, s57, 0                                  // 000000003728: 85398039
	v_mfma_i32_16x16x32_i8 v[48:51], a[50:51], a[10:11], v[48:51]// 00000000372C: D3D70030 1CC21532
	buffer_load_dwordx4 a[32:35], v36, s[84:87], 0 offen       // 000000003734: E05C1000 80952024
	s_add_u32 s60, 0x100, s80                                  // 00000000373C: 803C50FF 00000100
	s_cmp_lt_u32 s60, s81                                      // 000000003744: BF0A513C
	s_cselect_b32 s58, s58, 0                                  // 000000003748: 853A803A
	v_mfma_i32_16x16x32_i8 v[48:51], a[52:53], a[12:13], v[48:51]// 00000000374C: D3D70030 1CC21934
	s_add_u32 s60, 0x100, s80                                  // 000000003754: 803C50FF 00000100
	s_cmp_lt_u32 s60, s81                                      // 00000000375C: BF0A513C
	s_cselect_b32 s83, s83, 0                                  // 000000003760: 85538053
	v_mfma_i32_16x16x32_i8 v[48:51], a[54:55], a[14:15], v[48:51]// 000000003764: D3D70030 1CC21D36
	ds_read_b128 a[0:3], v2                                    // 00000000376C: DBFE0000 00000002
	ds_read_b128 a[4:7], v2 offset:64                          // 000000003774: DBFE0040 04000002
	s_add_u32 s24, s58, s24                                    // 00000000377C: 8018183A
	s_addc_u32 s25, 0, s25                                     // 000000003780: 82191980
	v_mfma_i32_16x16x32_i8 v[52:55], a[56:57], a[8:9], v[52:55]// 000000003784: D3D70034 1CD21138
	s_add_u32 s20, s57, s20                                    // 00000000378C: 80141439
	s_addc_u32 s21, 0, s21                                     // 000000003790: 82151580
	v_mfma_i32_16x16x32_i8 v[52:55], a[58:59], a[10:11], v[52:55]// 000000003794: D3D70034 1CD2153A
	buffer_load_dwordx4 a[36:39], v36, s[84:87], 0 offen offset:1024// 00000000379C: E05C1400 80952424
	v_mfma_i32_16x16x32_i8 v[52:55], a[60:61], a[12:13], v[52:55]// 0000000037A4: D3D70034 1CD2193C
	v_mfma_i32_16x16x32_i8 v[52:55], a[62:63], a[14:15], v[52:55]// 0000000037AC: D3D70034 1CD21D3E
	buffer_load_dwordx4 a[40:43], v37, s[84:87], 0 offen       // 0000000037B4: E05C1000 80952825
	buffer_load_dwordx4 a[44:47], v37, s[84:87], 0 offen offset:1024// 0000000037BC: E05C1400 80952C25
	s_add_u32 s84, s83, s84                                    // 0000000037C4: 80545453
	s_addc_u32 s85, 0, s85                                     // 0000000037C8: 82555580
	s_addk_i32 s80, 0x80                                       // 0000000037CC: B7500080
	s_cmp_lt_i32 s80, s81                                      // 0000000037D0: BF045150
	s_cbranch_scc0 label_0377                                  // 0000000037D4: BF840001
	s_branch label_0184                                        // 0000000037D8: BF82FE0D

00000000000037dc <label_0377>:
	v_cvt_f32_i32_e32 v40, v40                                 // 0000000037DC: 7E500B28
	v_cvt_f32_i32_e32 v41, v41                                 // 0000000037E0: 7E520B29
	v_cvt_f32_i32_e32 v42, v42                                 // 0000000037E4: 7E540B2A
	v_cvt_f32_i32_e32 v43, v43                                 // 0000000037E8: 7E560B2B
	v_mul_f32_dpp v40, v24, v40 row_newbcast:0 row_mask:0xf bank_mask:0xf// 0000000037EC: 0A5050FA FF015018
	v_mul_f32_dpp v41, v24, v41 row_newbcast:1 row_mask:0xf bank_mask:0xf// 0000000037F4: 0A5252FA FF015118
	v_mul_f32_dpp v42, v24, v42 row_newbcast:2 row_mask:0xf bank_mask:0xf// 0000000037FC: 0A5454FA FF015218
	v_mul_f32_dpp v43, v24, v43 row_newbcast:3 row_mask:0xf bank_mask:0xf// 000000003804: 0A5656FA FF015318
	v_cvt_f32_i32_e32 v44, v44                                 // 00000000380C: 7E580B2C
	v_cvt_f32_i32_e32 v45, v45                                 // 000000003810: 7E5A0B2D
	v_cvt_f32_i32_e32 v46, v46                                 // 000000003814: 7E5C0B2E
	v_cvt_f32_i32_e32 v47, v47                                 // 000000003818: 7E5E0B2F
	v_mul_f32_dpp v44, v24, v44 row_newbcast:4 row_mask:0xf bank_mask:0xf// 00000000381C: 0A5858FA FF015418
	v_mul_f32_dpp v45, v24, v45 row_newbcast:5 row_mask:0xf bank_mask:0xf// 000000003824: 0A5A5AFA FF015518
	v_mul_f32_dpp v46, v24, v46 row_newbcast:6 row_mask:0xf bank_mask:0xf// 00000000382C: 0A5C5CFA FF015618
	v_mul_f32_dpp v47, v24, v47 row_newbcast:7 row_mask:0xf bank_mask:0xf// 000000003834: 0A5E5EFA FF015718
	v_cvt_f32_i32_e32 v48, v48                                 // 00000000383C: 7E600B30
	v_cvt_f32_i32_e32 v49, v49                                 // 000000003840: 7E620B31
	v_cvt_f32_i32_e32 v50, v50                                 // 000000003844: 7E640B32
	v_cvt_f32_i32_e32 v51, v51                                 // 000000003848: 7E660B33
	v_mul_f32_dpp v48, v27, v48 row_newbcast:0 row_mask:0xf bank_mask:0xf// 00000000384C: 0A6060FA FF01501B
	v_mul_f32_dpp v49, v27, v49 row_newbcast:1 row_mask:0xf bank_mask:0xf// 000000003854: 0A6262FA FF01511B
	v_mul_f32_dpp v50, v27, v50 row_newbcast:2 row_mask:0xf bank_mask:0xf// 00000000385C: 0A6464FA FF01521B
	v_mul_f32_dpp v51, v27, v51 row_newbcast:3 row_mask:0xf bank_mask:0xf// 000000003864: 0A6666FA FF01531B
	v_cvt_f32_i32_e32 v52, v52                                 // 00000000386C: 7E680B34
	v_cvt_f32_i32_e32 v53, v53                                 // 000000003870: 7E6A0B35
	v_cvt_f32_i32_e32 v54, v54                                 // 000000003874: 7E6C0B36
	v_cvt_f32_i32_e32 v55, v55                                 // 000000003878: 7E6E0B37
	v_mul_f32_dpp v52, v27, v52 row_newbcast:4 row_mask:0xf bank_mask:0xf// 00000000387C: 0A6868FA FF01541B
	v_mul_f32_dpp v53, v27, v53 row_newbcast:5 row_mask:0xf bank_mask:0xf// 000000003884: 0A6A6AFA FF01551B
	v_mul_f32_dpp v54, v27, v54 row_newbcast:6 row_mask:0xf bank_mask:0xf// 00000000388C: 0A6C6CFA FF01561B
	v_mul_f32_dpp v55, v27, v55 row_newbcast:7 row_mask:0xf bank_mask:0xf// 000000003894: 0A6E6EFA FF01571B
	v_mov_b32_e32 v4, v31                                      // 00000000389C: 7E08031F
	v_mov_b32_e32 v5, v4                                       // 0000000038A0: 7E0A0304
	v_pk_mul_f32 v[40:41], v[4:5], v[40:41]                    // 0000000038A4: D3B14028 18025104
	v_pk_mul_f32 v[48:49], v[4:5], v[48:49]                    // 0000000038AC: D3B14030 18026104
	v_pk_mul_f32 v[42:43], v[4:5], v[42:43]                    // 0000000038B4: D3B1402A 18025504
	v_pk_mul_f32 v[50:51], v[4:5], v[50:51]                    // 0000000038BC: D3B14032 18026504
	v_pk_mul_f32 v[44:45], v[4:5], v[44:45]                    // 0000000038C4: D3B1402C 18025904
	v_pk_mul_f32 v[52:53], v[4:5], v[52:53]                    // 0000000038CC: D3B14034 18026904
	v_pk_mul_f32 v[46:47], v[4:5], v[46:47]                    // 0000000038D4: D3B1402E 18025D04
	v_pk_mul_f32 v[54:55], v[4:5], v[54:55]                    // 0000000038DC: D3B14036 18026D04
	s_cmp_eq_u32 s88, 0                                        // 0000000038E4: BF068058
	s_cbranch_scc0 label_0504                                  // 0000000038E8: BF840149
	s_cmp_eq_u32 s89, 0                                        // 0000000038EC: BF068059
	s_cbranch_scc1 label_0412                                  // 0000000038F0: BF850055
	v_mov_b32_e32 v8, v1                                       // 0000000038F4: 7E100301
	v_mov_b32_e32 v9, v1                                       // 0000000038F8: 7E120301
	s_mov_b32 s60, s6                                          // 0000000038FC: BEBC0006
	s_mov_b32 s61, s6                                          // 000000003900: BEBD0006
	v_pk_mul_f32 v[4:5], v[40:41], v[40:41]                    // 000000003904: D3B14004 18025128
	v_pk_mul_f32 v[6:7], v[42:43], v[42:43]                    // 00000000390C: D3B14006 1802552A
	v_pk_fma_f32 v[4:5], v[4:5], s[78:79], v[8:9]              // 000000003914: D3B04004 1C209D04
	v_pk_fma_f32 v[6:7], v[6:7], s[78:79], v[8:9]              // 00000000391C: D3B04006 1C209D06
	v_pk_mul_f32 v[4:5], v[4:5], v[40:41]                      // 000000003924: D3B14004 18025104
	v_pk_mul_f32 v[6:7], v[6:7], v[42:43]                      // 00000000392C: D3B14006 18025506
	v_pk_mul_f32 v[4:5], v[4:5], s[60:61]                      // 000000003934: D3B14004 18007904
	v_pk_mul_f32 v[6:7], v[6:7], s[60:61]                      // 00000000393C: D3B14006 18007906
	v_exp_f32_e32 v4, v4                                       // 000000003944: 7E084104
	v_exp_f32_e32 v5, v5                                       // 000000003948: 7E0A4105
	v_exp_f32_e32 v6, v6                                       // 00000000394C: 7E0C4106
	v_exp_f32_e32 v7, v7                                       // 000000003950: 7E0E4107
	v_add_f32_e64 v4, v4, 1.0                                  // 000000003954: D1010004 0001E504
	v_add_f32_e64 v5, v5, 1.0                                  // 00000000395C: D1010005 0001E505
	v_add_f32_e64 v6, v6, 1.0                                  // 000000003964: D1010006 0001E506
	v_add_f32_e64 v7, v7, 1.0                                  // 00000000396C: D1010007 0001E507
	v_rcp_f32_e32 v4, v4                                       // 000000003974: 7E084504
	v_rcp_f32_e32 v5, v5                                       // 000000003978: 7E0A4505
	v_rcp_f32_e32 v6, v6                                       // 00000000397C: 7E0C4506
	v_rcp_f32_e32 v7, v7                                       // 000000003980: 7E0E4507
	v_mul_f32_e32 v40, v40, v4                                 // 000000003984: 0A500928
	v_mul_f32_e32 v41, v41, v5                                 // 000000003988: 0A520B29
	v_mul_f32_e32 v42, v42, v6                                 // 00000000398C: 0A540D2A
	v_mul_f32_e32 v43, v43, v7                                 // 000000003990: 0A560F2B
	v_mul_f32_e32 v40, v40, v48                                // 000000003994: 0A506128
	v_mul_f32_e32 v41, v41, v49                                // 000000003998: 0A526329
	v_mul_f32_e32 v42, v42, v50                                // 00000000399C: 0A54652A
	v_mul_f32_e32 v43, v43, v51                                // 0000000039A0: 0A56672B
	v_pk_mul_f32 v[4:5], v[44:45], v[44:45]                    // 0000000039A4: D3B14004 1802592C
	v_pk_mul_f32 v[6:7], v[46:47], v[46:47]                    // 0000000039AC: D3B14006 18025D2E
	v_pk_fma_f32 v[4:5], v[4:5], s[78:79], v[8:9]              // 0000000039B4: D3B04004 1C209D04
	v_pk_fma_f32 v[6:7], v[6:7], s[78:79], v[8:9]              // 0000000039BC: D3B04006 1C209D06
	v_pk_mul_f32 v[4:5], v[4:5], v[44:45]                      // 0000000039C4: D3B14004 18025904
	v_pk_mul_f32 v[6:7], v[6:7], v[46:47]                      // 0000000039CC: D3B14006 18025D06
	v_pk_mul_f32 v[4:5], v[4:5], s[60:61]                      // 0000000039D4: D3B14004 18007904
	v_pk_mul_f32 v[6:7], v[6:7], s[60:61]                      // 0000000039DC: D3B14006 18007906
	v_exp_f32_e32 v4, v4                                       // 0000000039E4: 7E084104
	v_exp_f32_e32 v5, v5                                       // 0000000039E8: 7E0A4105
	v_exp_f32_e32 v6, v6                                       // 0000000039EC: 7E0C4106
	v_exp_f32_e32 v7, v7                                       // 0000000039F0: 7E0E4107
	v_add_f32_e64 v4, v4, 1.0                                  // 0000000039F4: D1010004 0001E504
	v_add_f32_e64 v5, v5, 1.0                                  // 0000000039FC: D1010005 0001E505
	v_add_f32_e64 v6, v6, 1.0                                  // 000000003A04: D1010006 0001E506
	v_add_f32_e64 v7, v7, 1.0                                  // 000000003A0C: D1010007 0001E507
	v_rcp_f32_e32 v4, v4                                       // 000000003A14: 7E084504
	v_rcp_f32_e32 v5, v5                                       // 000000003A18: 7E0A4505
	v_rcp_f32_e32 v6, v6                                       // 000000003A1C: 7E0C4506
	v_rcp_f32_e32 v7, v7                                       // 000000003A20: 7E0E4507
	v_mul_f32_e32 v44, v44, v4                                 // 000000003A24: 0A58092C
	v_mul_f32_e32 v45, v45, v5                                 // 000000003A28: 0A5A0B2D
	v_mul_f32_e32 v46, v46, v6                                 // 000000003A2C: 0A5C0D2E
	v_mul_f32_e32 v47, v47, v7                                 // 000000003A30: 0A5E0F2F
	v_mul_f32_e32 v44, v44, v52                                // 000000003A34: 0A58692C
	v_mul_f32_e32 v45, v45, v53                                // 000000003A38: 0A5A6B2D
	v_mul_f32_e32 v46, v46, v54                                // 000000003A3C: 0A5C6D2E
	v_mul_f32_e32 v47, v47, v55                                // 000000003A40: 0A5E6F2F
	s_branch label_0452                                        // 000000003A44: BF820040

0000000000003a48 <label_0412>:
	v_mul_f32_e64 v4, -v40, s6                                 // 000000003A48: D1050004 20000D28
	v_mul_f32_e64 v5, -v41, s6                                 // 000000003A50: D1050005 20000D29
	v_mul_f32_e64 v6, -v42, s6                                 // 000000003A58: D1050006 20000D2A
	v_mul_f32_e64 v7, -v43, s6                                 // 000000003A60: D1050007 20000D2B
	v_exp_f32_e32 v4, v4                                       // 000000003A68: 7E084104
	v_exp_f32_e32 v5, v5                                       // 000000003A6C: 7E0A4105
	v_exp_f32_e32 v6, v6                                       // 000000003A70: 7E0C4106
	v_exp_f32_e32 v7, v7                                       // 000000003A74: 7E0E4107
	v_add_f32_e64 v4, v4, 1.0                                  // 000000003A78: D1010004 0001E504
	v_add_f32_e64 v5, v5, 1.0                                  // 000000003A80: D1010005 0001E505
	v_add_f32_e64 v6, v6, 1.0                                  // 000000003A88: D1010006 0001E506
	v_add_f32_e64 v7, v7, 1.0                                  // 000000003A90: D1010007 0001E507
	v_rcp_f32_e32 v4, v4                                       // 000000003A98: 7E084504
	v_rcp_f32_e32 v5, v5                                       // 000000003A9C: 7E0A4505
	v_rcp_f32_e32 v6, v6                                       // 000000003AA0: 7E0C4506
	v_rcp_f32_e32 v7, v7                                       // 000000003AA4: 7E0E4507
	v_mul_f32_e32 v40, v40, v4                                 // 000000003AA8: 0A500928
	v_mul_f32_e32 v41, v41, v5                                 // 000000003AAC: 0A520B29
	v_mul_f32_e32 v42, v42, v6                                 // 000000003AB0: 0A540D2A
	v_mul_f32_e32 v43, v43, v7                                 // 000000003AB4: 0A560F2B
	v_mul_f32_e32 v40, v40, v48                                // 000000003AB8: 0A506128
	v_mul_f32_e32 v41, v41, v49                                // 000000003ABC: 0A526329
	v_mul_f32_e32 v42, v42, v50                                // 000000003AC0: 0A54652A
	v_mul_f32_e32 v43, v43, v51                                // 000000003AC4: 0A56672B
	v_mul_f32_e64 v4, -v44, s6                                 // 000000003AC8: D1050004 20000D2C
	v_mul_f32_e64 v5, -v45, s6                                 // 000000003AD0: D1050005 20000D2D
	v_mul_f32_e64 v6, -v46, s6                                 // 000000003AD8: D1050006 20000D2E
	v_mul_f32_e64 v7, -v47, s6                                 // 000000003AE0: D1050007 20000D2F
	v_exp_f32_e32 v4, v4                                       // 000000003AE8: 7E084104
	v_exp_f32_e32 v5, v5                                       // 000000003AEC: 7E0A4105
	v_exp_f32_e32 v6, v6                                       // 000000003AF0: 7E0C4106
	v_exp_f32_e32 v7, v7                                       // 000000003AF4: 7E0E4107
	v_add_f32_e64 v4, v4, 1.0                                  // 000000003AF8: D1010004 0001E504
	v_add_f32_e64 v5, v5, 1.0                                  // 000000003B00: D1010005 0001E505
	v_add_f32_e64 v6, v6, 1.0                                  // 000000003B08: D1010006 0001E506
	v_add_f32_e64 v7, v7, 1.0                                  // 000000003B10: D1010007 0001E507
	v_rcp_f32_e32 v4, v4                                       // 000000003B18: 7E084504
	v_rcp_f32_e32 v5, v5                                       // 000000003B1C: 7E0A4505
	v_rcp_f32_e32 v6, v6                                       // 000000003B20: 7E0C4506
	v_rcp_f32_e32 v7, v7                                       // 000000003B24: 7E0E4507
	v_mul_f32_e32 v44, v44, v4                                 // 000000003B28: 0A58092C
	v_mul_f32_e32 v45, v45, v5                                 // 000000003B2C: 0A5A0B2D
	v_mul_f32_e32 v46, v46, v6                                 // 000000003B30: 0A5C0D2E
	v_mul_f32_e32 v47, v47, v7                                 // 000000003B34: 0A5E0F2F
	v_mul_f32_e32 v44, v44, v52                                // 000000003B38: 0A58692C
	v_mul_f32_e32 v45, v45, v53                                // 000000003B3C: 0A5A6B2D
	v_mul_f32_e32 v46, v46, v54                                // 000000003B40: 0A5C6D2E
	v_mul_f32_e32 v47, v47, v55                                // 000000003B44: 0A5E6F2F

0000000000003b48 <label_0452>:
	v_cmp_u_f32_e64 s[46:47], v40, v40                         // 000000003B48: D048002E 00025128
	v_add3_u32 v16, v40, v19, 1                                // 000000003B50: D1FF0010 02062728
	v_cndmask_b32_e64 v4, v16, v18, s[46:47]                   // 000000003B58: D1000004 00BA2510
	v_cmp_u_f32_e64 s[46:47], v41, v41                         // 000000003B60: D048002E 00025329
	v_add3_u32 v16, v41, v19, 1                                // 000000003B68: D1FF0010 02062729
	v_cndmask_b32_e64 v5, v16, v18, s[46:47]                   // 000000003B70: D1000005 00BA2510
	v_perm_b32 v40, v5, v4, s52                                // 000000003B78: D1ED0028 00D20905
	v_cmp_u_f32_e64 s[46:47], v42, v42                         // 000000003B80: D048002E 0002552A
	v_add3_u32 v16, v42, v19, 1                                // 000000003B88: D1FF0010 0206272A
	v_cndmask_b32_e64 v4, v16, v18, s[46:47]                   // 000000003B90: D1000004 00BA2510
	v_cmp_u_f32_e64 s[46:47], v43, v43                         // 000000003B98: D048002E 0002572B
	v_add3_u32 v16, v43, v19, 1                                // 000000003BA0: D1FF0010 0206272B
	v_cndmask_b32_e64 v5, v16, v18, s[46:47]                   // 000000003BA8: D1000005 00BA2510
	v_perm_b32 v41, v5, v4, s52                                // 000000003BB0: D1ED0029 00D20905
	v_cmp_u_f32_e64 s[46:47], v44, v44                         // 000000003BB8: D048002E 0002592C
	v_add3_u32 v16, v44, v19, 1                                // 000000003BC0: D1FF0010 0206272C
	v_cndmask_b32_e64 v4, v16, v18, s[46:47]                   // 000000003BC8: D1000004 00BA2510
	v_cmp_u_f32_e64 s[46:47], v45, v45                         // 000000003BD0: D048002E 00025B2D
	v_add3_u32 v16, v45, v19, 1                                // 000000003BD8: D1FF0010 0206272D
	v_cndmask_b32_e64 v5, v16, v18, s[46:47]                   // 000000003BE0: D1000005 00BA2510
	v_perm_b32 v42, v5, v4, s52                                // 000000003BE8: D1ED002A 00D20905
	v_cmp_u_f32_e64 s[46:47], v46, v46                         // 000000003BF0: D048002E 00025D2E
	v_add3_u32 v16, v46, v19, 1                                // 000000003BF8: D1FF0010 0206272E
	v_cndmask_b32_e64 v4, v16, v18, s[46:47]                   // 000000003C00: D1000004 00BA2510
	v_cmp_u_f32_e64 s[46:47], v47, v47                         // 000000003C08: D048002E 00025F2F
	v_add3_u32 v16, v47, v19, 1                                // 000000003C10: D1FF0010 0206272F
	v_cndmask_b32_e64 v5, v16, v18, s[46:47]                   // 000000003C18: D1000005 00BA2510
	v_perm_b32 v43, v5, v4, s52                                // 000000003C20: D1ED002B 00D20905
	ds_write_b64 v20, v[40:41]                                 // 000000003C28: D89A0000 00002814
	ds_write_b64 v20, v[42:43] offset:2176                     // 000000003C30: D89A0880 00002A14
	v_lshrrev_b32_e32 v4, 5, v0                                // 000000003C38: 20080085
	v_xor_b32_e32 v5, 1, v4                                    // 000000003C3C: 2A0A0881
	s_mul_i32 s60, s65, 2                                      // 000000003C40: 923C8241
	s_cmp_eq_u32 s88, 0                                        // 000000003C44: BF068058
	s_cselect_b32 s61, 1, 4                                    // 000000003C48: 853D8481
	s_mul_i32 s60, s61, s60                                    // 000000003C4C: 923C3C3D
	v_readlane_b32 s82, v3, 0                                  // 000000003C50: D2890052 00010103
	s_lshr_b32 s61, s82, 24                                    // 000000003C58: 8F3D9852
	s_and_b32 s82, s82, 0xffffff                               // 000000003C5C: 8652FF52 00FFFFFF
	s_mul_i32 s82, s82, s71                                    // 000000003C64: 92524752
	s_mul_i32 s61, s60, s61                                    // 000000003C68: 923D3D3C
	s_add_u32 s82, s82, s61                                    // 000000003C6C: 80523D52
	v_mul_lo_u32 v6, v5, s82                                   // 000000003C70: D2850006 0000A505
	v_readlane_b32 s82, v3, 1                                  // 000000003C78: D2890052 00010303
	s_lshr_b32 s61, s82, 24                                    // 000000003C80: 8F3D9852
	s_and_b32 s82, s82, 0xffffff                               // 000000003C84: 8652FF52 00FFFFFF
	s_mul_i32 s82, s82, s71                                    // 000000003C8C: 92524752
	s_mul_i32 s61, s60, s61                                    // 000000003C90: 923D3D3C
	s_add_u32 s82, s82, s61                                    // 000000003C94: 80523D52
	v_mul_lo_u32 v7, v4, s82                                   // 000000003C98: D2850007 0000A504
	v_add_u32_e32 v34, v6, v7                                  // 000000003CA0: 68440F06
	v_readlane_b32 s82, v3, 2                                  // 000000003CA4: D2890052 00010503
	s_lshr_b32 s61, s82, 24                                    // 000000003CAC: 8F3D9852
	s_and_b32 s82, s82, 0xffffff                               // 000000003CB0: 8652FF52 00FFFFFF
	s_mul_i32 s82, s82, s71                                    // 000000003CB8: 92524752
	s_mul_i32 s61, s60, s61                                    // 000000003CBC: 923D3D3C
	s_add_u32 s82, s82, s61                                    // 000000003CC0: 80523D52
	v_mul_lo_u32 v6, v5, s82                                   // 000000003CC4: D2850006 0000A505
	v_readlane_b32 s82, v3, 3                                  // 000000003CCC: D2890052 00010703
	s_lshr_b32 s61, s82, 24                                    // 000000003CD4: 8F3D9852
	s_and_b32 s82, s82, 0xffffff                               // 000000003CD8: 8652FF52 00FFFFFF
	s_mul_i32 s82, s82, s71                                    // 000000003CE0: 92524752
	s_mul_i32 s61, s60, s61                                    // 000000003CE4: 923D3D3C
	s_add_u32 s82, s82, s61                                    // 000000003CE8: 80523D52
	v_mul_lo_u32 v7, v4, s82                                   // 000000003CEC: D2850007 0000A504
	v_add_u32_e32 v35, v6, v7                                  // 000000003CF4: 68460F06
	v_and_b32_e32 v4, 31, v0                                   // 000000003CF8: 2608009F
	v_lshrrev_b32_e32 v4, 1, v4                                // 000000003CFC: 20080881
	s_cmp_eq_u32 s88, 0                                        // 000000003D00: BF068058
	s_cselect_b32 s61, 2, 4                                    // 000000003D04: 853D8482
	v_mul_lo_u32 v4, v4, s61                                   // 000000003D08: D2850004 00007B04
	v_and_b32_e64 v5, v0, 1                                    // 000000003D10: D1130005 00010300
	v_add_u32_e32 v4, v4, v5                                   // 000000003D18: 68080B04
	v_lshlrev_b32_e32 v4, 2, v4                                // 000000003D1C: 24080882
	v_add_u32_e32 v34, v34, v4                                 // 000000003D20: 68440922
	v_add_u32_e32 v35, v35, v4                                 // 000000003D24: 68460923
	s_waitcnt lgkmcnt(0)                                       // 000000003D28: BF8CC07F
	s_barrier                                                  // 000000003D2C: BF8A0000
	ds_read_b32 v40, v21                                       // 000000003D30: D86C0000 28000015
	ds_read_b32 v41, v21 offset:64                             // 000000003D38: D86C0040 29000015
	ds_read_b32 v42, v21 offset:2176                           // 000000003D40: D86C0880 2A000015
	ds_read_b32 v43, v21 offset:2240                           // 000000003D48: D86C08C0 2B000015
	s_waitcnt lgkmcnt(0)                                       // 000000003D50: BF8CC07F
	s_mov_b32 s36, -1                                          // 000000003D54: BEA400C1
	s_mov_b32 s37, -1                                          // 000000003D58: BEA500C1
	v_mov_b32_e32 v7, 0                                        // 000000003D5C: 7E0E0280
	s_or_b32 s9, s9, 0x40000                                   // 000000003D60: 8709FF09 00040000
	s_mov_b64 exec, s[36:37]                                   // 000000003D68: BEFE0124
	v_mov_b32_e32 v6, v34                                      // 000000003D6C: 7E0C0322
	s_mov_b64 s[60:61], 0                                      // 000000003D70: BEBC0180
	v_readlane_b32 s82, v3, 0                                  // 000000003D74: D2890052 00010103
	s_and_b32 s82, s82, 0xffffff                               // 000000003D7C: 8652FF52 00FFFFFF
	s_cmp_lt_u32 s82, s66                                      // 000000003D84: BF0A4252
	s_cselect_b32 s20, s36, s60                                // 000000003D88: 85143C24
	v_readlane_b32 s82, v3, 1                                  // 000000003D8C: D2890052 00010303
	s_and_b32 s82, s82, 0xffffff                               // 000000003D94: 8652FF52 00FFFFFF
	s_cmp_lt_u32 s82, s66                                      // 000000003D9C: BF0A4252
	s_cselect_b32 s21, s36, s60                                // 000000003DA0: 85153C24
	s_mov_b64 exec, s[20:21]                                   // 000000003DA4: BEFE0114
	buffer_store_dword v40, v6, s[8:11], 0 offen               // 000000003DA8: E0701000 80022806
	buffer_store_dword v42, v6, s[8:11], 0 offen offset:128    // 000000003DB0: E0701080 80022A06
	s_mov_b64 exec, s[36:37]                                   // 000000003DB8: BEFE0124
	v_mov_b32_e32 v6, v35                                      // 000000003DBC: 7E0C0323
	s_mov_b64 s[60:61], 0                                      // 000000003DC0: BEBC0180
	v_readlane_b32 s82, v3, 2                                  // 000000003DC4: D2890052 00010503
	s_and_b32 s82, s82, 0xffffff                               // 000000003DCC: 8652FF52 00FFFFFF
	s_cmp_lt_u32 s82, s66                                      // 000000003DD4: BF0A4252
	s_cselect_b32 s20, s36, s60                                // 000000003DD8: 85143C24
	v_readlane_b32 s82, v3, 3                                  // 000000003DDC: D2890052 00010703
	s_and_b32 s82, s82, 0xffffff                               // 000000003DE4: 8652FF52 00FFFFFF
	s_cmp_lt_u32 s82, s66                                      // 000000003DEC: BF0A4252
	s_cselect_b32 s21, s36, s60                                // 000000003DF0: 85153C24
	s_mov_b64 exec, s[20:21]                                   // 000000003DF4: BEFE0114
	buffer_store_dword v41, v6, s[8:11], 0 offen               // 000000003DF8: E0701000 80022906
	buffer_store_dword v43, v6, s[8:11], 0 offen offset:128    // 000000003E00: E0701080 80022B06
	s_mov_b64 exec, s[36:37]                                   // 000000003E08: BEFE0124
	s_branch label_0AD3                                        // 000000003E0C: BF8205CC

0000000000003e10 <label_0504>:
	ds_write_b64 v20, v[40:41]                                 // 000000003E10: D89A0000 00002814
	ds_write_b64 v20, v[44:45] offset:2176                     // 000000003E18: D89A0880 00002C14
	v_lshrrev_b32_e32 v4, 5, v0                                // 000000003E20: 20080085
	v_xor_b32_e32 v5, 1, v4                                    // 000000003E24: 2A0A0881
	s_mul_i32 s60, s65, 2                                      // 000000003E28: 923C8241
	s_cmp_eq_u32 s88, 0                                        // 000000003E2C: BF068058
	s_cselect_b32 s61, 1, 4                                    // 000000003E30: 853D8481
	s_mul_i32 s60, s61, s60                                    // 000000003E34: 923C3C3D
	v_readlane_b32 s82, v3, 0                                  // 000000003E38: D2890052 00010103
	s_lshr_b32 s61, s82, 24                                    // 000000003E40: 8F3D9852
	s_and_b32 s82, s82, 0xffffff                               // 000000003E44: 8652FF52 00FFFFFF
	s_mul_i32 s82, s82, s71                                    // 000000003E4C: 92524752
	s_mul_i32 s61, s60, s61                                    // 000000003E50: 923D3D3C
	s_add_u32 s82, s82, s61                                    // 000000003E54: 80523D52
	v_mul_lo_u32 v6, v5, s82                                   // 000000003E58: D2850006 0000A505
	v_readlane_b32 s82, v3, 1                                  // 000000003E60: D2890052 00010303
	s_lshr_b32 s61, s82, 24                                    // 000000003E68: 8F3D9852
	s_and_b32 s82, s82, 0xffffff                               // 000000003E6C: 8652FF52 00FFFFFF
	s_mul_i32 s82, s82, s71                                    // 000000003E74: 92524752
	s_mul_i32 s61, s60, s61                                    // 000000003E78: 923D3D3C
	s_add_u32 s82, s82, s61                                    // 000000003E7C: 80523D52
	v_mul_lo_u32 v7, v4, s82                                   // 000000003E80: D2850007 0000A504
	v_add_u32_e32 v34, v6, v7                                  // 000000003E88: 68440F06
	v_readlane_b32 s82, v3, 2                                  // 000000003E8C: D2890052 00010503
	s_lshr_b32 s61, s82, 24                                    // 000000003E94: 8F3D9852
	s_and_b32 s82, s82, 0xffffff                               // 000000003E98: 8652FF52 00FFFFFF
	s_mul_i32 s82, s82, s71                                    // 000000003EA0: 92524752
	s_mul_i32 s61, s60, s61                                    // 000000003EA4: 923D3D3C
	s_add_u32 s82, s82, s61                                    // 000000003EA8: 80523D52
	v_mul_lo_u32 v6, v5, s82                                   // 000000003EAC: D2850006 0000A505
	v_readlane_b32 s82, v3, 3                                  // 000000003EB4: D2890052 00010703
	s_lshr_b32 s61, s82, 24                                    // 000000003EBC: 8F3D9852
	s_and_b32 s82, s82, 0xffffff                               // 000000003EC0: 8652FF52 00FFFFFF
	s_mul_i32 s82, s82, s71                                    // 000000003EC8: 92524752
	s_mul_i32 s61, s60, s61                                    // 000000003ECC: 923D3D3C
	s_add_u32 s82, s82, s61                                    // 000000003ED0: 80523D52
	v_mul_lo_u32 v7, v4, s82                                   // 000000003ED4: D2850007 0000A504
	v_add_u32_e32 v35, v6, v7                                  // 000000003EDC: 68460F06
	v_and_b32_e32 v4, 31, v0                                   // 000000003EE0: 2608009F
	v_lshrrev_b32_e32 v4, 1, v4                                // 000000003EE4: 20080881
	s_cmp_eq_u32 s88, 0                                        // 000000003EE8: BF068058
	s_cselect_b32 s61, 2, 4                                    // 000000003EEC: 853D8482
	v_mul_lo_u32 v4, v4, s61                                   // 000000003EF0: D2850004 00007B04
	v_and_b32_e64 v5, v0, 1                                    // 000000003EF8: D1130005 00010300
	v_add_u32_e32 v4, v4, v5                                   // 000000003F00: 68080B04
	v_lshlrev_b32_e32 v4, 2, v4                                // 000000003F04: 24080882
	v_add_u32_e32 v34, v34, v4                                 // 000000003F08: 68440922
	v_add_u32_e32 v35, v35, v4                                 // 000000003F0C: 68460923
	s_waitcnt lgkmcnt(0)                                       // 000000003F10: BF8CC07F
	s_barrier                                                  // 000000003F14: BF8A0000
	ds_read_b32 v40, v21                                       // 000000003F18: D86C0000 28000015
	ds_read_b32 v41, v21 offset:64                             // 000000003F20: D86C0040 29000015
	ds_read_b32 v44, v21 offset:2176                           // 000000003F28: D86C0880 2C000015
	ds_read_b32 v45, v21 offset:2240                           // 000000003F30: D86C08C0 2D000015
	s_waitcnt lgkmcnt(0)                                       // 000000003F38: BF8CC07F
	s_mov_b32 s36, -1                                          // 000000003F3C: BEA400C1
	s_mov_b32 s37, -1                                          // 000000003F40: BEA500C1
	v_mov_b32_e32 v7, 0                                        // 000000003F44: 7E0E0280
	s_mov_b64 exec, s[36:37]                                   // 000000003F48: BEFE0124
	v_mov_b32_e32 v6, v34                                      // 000000003F4C: 7E0C0322
	s_mov_b64 s[60:61], 0                                      // 000000003F50: BEBC0180
	v_readlane_b32 s82, v3, 0                                  // 000000003F54: D2890052 00010103
	s_and_b32 s82, s82, 0xffffff                               // 000000003F5C: 8652FF52 00FFFFFF
	s_cmp_lt_u32 s82, s66                                      // 000000003F64: BF0A4252
	s_cselect_b32 s20, s36, s60                                // 000000003F68: 85143C24
	v_readlane_b32 s82, v3, 1                                  // 000000003F6C: D2890052 00010303
	s_and_b32 s82, s82, 0xffffff                               // 000000003F74: 8652FF52 00FFFFFF
	s_cmp_lt_u32 s82, s66                                      // 000000003F7C: BF0A4252
	s_cselect_b32 s21, s36, s60                                // 000000003F80: 85153C24
	s_mov_b64 exec, s[20:21]                                   // 000000003F84: BEFE0114
	global_atomic_add_f32 v6, v40, s[8:9]                      // 000000003F88: DD348000 00082806
	global_atomic_add_f32 v6, v44, s[8:9] offset:256           // 000000003F90: DD348100 00082C06
	s_mov_b64 exec, s[36:37]                                   // 000000003F98: BEFE0124
	v_mov_b32_e32 v6, v35                                      // 000000003F9C: 7E0C0323
	s_mov_b64 s[60:61], 0                                      // 000000003FA0: BEBC0180
	v_readlane_b32 s82, v3, 2                                  // 000000003FA4: D2890052 00010503
	s_and_b32 s82, s82, 0xffffff                               // 000000003FAC: 8652FF52 00FFFFFF
	s_cmp_lt_u32 s82, s66                                      // 000000003FB4: BF0A4252
	s_cselect_b32 s20, s36, s60                                // 000000003FB8: 85143C24
	v_readlane_b32 s82, v3, 3                                  // 000000003FBC: D2890052 00010703
	s_and_b32 s82, s82, 0xffffff                               // 000000003FC4: 8652FF52 00FFFFFF
	s_cmp_lt_u32 s82, s66                                      // 000000003FCC: BF0A4252
	s_cselect_b32 s21, s36, s60                                // 000000003FD0: 85153C24
	s_mov_b64 exec, s[20:21]                                   // 000000003FD4: BEFE0114
	global_atomic_add_f32 v6, v41, s[8:9]                      // 000000003FD8: DD348000 00082906
	global_atomic_add_f32 v6, v45, s[8:9] offset:256           // 000000003FE0: DD348100 00082D06
	s_mov_b64 exec, s[36:37]                                   // 000000003FE8: BEFE0124
	ds_write_b64 v20, v[42:43]                                 // 000000003FEC: D89A0000 00002A14
	ds_write_b64 v20, v[46:47] offset:2176                     // 000000003FF4: D89A0880 00002E14
	s_waitcnt lgkmcnt(0)                                       // 000000003FFC: BF8CC07F
	s_barrier                                                  // 000000004000: BF8A0000
	ds_read_b32 v42, v21                                       // 000000004004: D86C0000 2A000015
	ds_read_b32 v43, v21 offset:64                             // 00000000400C: D86C0040 2B000015
	ds_read_b32 v46, v21 offset:2176                           // 000000004014: D86C0880 2E000015
	ds_read_b32 v47, v21 offset:2240                           // 00000000401C: D86C08C0 2F000015
	s_waitcnt lgkmcnt(0)                                       // 000000004024: BF8CC07F
	v_mov_b32_e32 v7, 0                                        // 000000004028: 7E0E0280
	s_mov_b64 exec, s[36:37]                                   // 00000000402C: BEFE0124
	v_mov_b32_e32 v6, v34                                      // 000000004030: 7E0C0322
	s_mov_b64 s[60:61], 0                                      // 000000004034: BEBC0180
	v_readlane_b32 s82, v3, 0                                  // 000000004038: D2890052 00010103
	s_and_b32 s82, s82, 0xffffff                               // 000000004040: 8652FF52 00FFFFFF
	s_cmp_lt_u32 s82, s66                                      // 000000004048: BF0A4252
	s_cselect_b32 s20, s36, s60                                // 00000000404C: 85143C24
	v_readlane_b32 s82, v3, 1                                  // 000000004050: D2890052 00010303
	s_and_b32 s82, s82, 0xffffff                               // 000000004058: 8652FF52 00FFFFFF
	s_cmp_lt_u32 s82, s66                                      // 000000004060: BF0A4252
	s_cselect_b32 s21, s36, s60                                // 000000004064: 85153C24
	s_mov_b64 exec, s[20:21]                                   // 000000004068: BEFE0114
	global_atomic_add_f32 v6, v42, s[8:9] offset:8             // 00000000406C: DD348008 00082A06
	global_atomic_add_f32 v6, v46, s[8:9] offset:264           // 000000004074: DD348108 00082E06
	s_mov_b64 exec, s[36:37]                                   // 00000000407C: BEFE0124
	v_mov_b32_e32 v6, v35                                      // 000000004080: 7E0C0323
	s_mov_b64 s[60:61], 0                                      // 000000004084: BEBC0180
	v_readlane_b32 s82, v3, 2                                  // 000000004088: D2890052 00010503
	s_and_b32 s82, s82, 0xffffff                               // 000000004090: 8652FF52 00FFFFFF
	s_cmp_lt_u32 s82, s66                                      // 000000004098: BF0A4252
	s_cselect_b32 s20, s36, s60                                // 00000000409C: 85143C24
	v_readlane_b32 s82, v3, 3                                  // 0000000040A0: D2890052 00010703
	s_and_b32 s82, s82, 0xffffff                               // 0000000040A8: 8652FF52 00FFFFFF
	s_cmp_lt_u32 s82, s66                                      // 0000000040B0: BF0A4252
	s_cselect_b32 s21, s36, s60                                // 0000000040B4: 85153C24
	s_mov_b64 exec, s[20:21]                                   // 0000000040B8: BEFE0114
	global_atomic_add_f32 v6, v43, s[8:9] offset:8             // 0000000040BC: DD348008 00082B06
	global_atomic_add_f32 v6, v47, s[8:9] offset:264           // 0000000040C4: DD348108 00082F06
	s_mov_b64 exec, s[36:37]                                   // 0000000040CC: BEFE0124
	ds_write_b64 v20, v[48:49]                                 // 0000000040D0: D89A0000 00003014
	ds_write_b64 v20, v[52:53] offset:2176                     // 0000000040D8: D89A0880 00003414
	s_waitcnt lgkmcnt(0)                                       // 0000000040E0: BF8CC07F
	s_barrier                                                  // 0000000040E4: BF8A0000
	ds_read_b32 v48, v21                                       // 0000000040E8: D86C0000 30000015
	ds_read_b32 v49, v21 offset:64                             // 0000000040F0: D86C0040 31000015
	ds_read_b32 v52, v21 offset:2176                           // 0000000040F8: D86C0880 34000015
	ds_read_b32 v53, v21 offset:2240                           // 000000004100: D86C08C0 35000015
	s_mul_i32 s60, s65, 4                                      // 000000004108: 923C8441
	s_add_u32 s8, s60, s8                                      // 00000000410C: 8008083C
	s_addc_u32 s9, 0, s9                                       // 000000004110: 82090980
	s_waitcnt lgkmcnt(0)                                       // 000000004114: BF8CC07F
	v_mov_b32_e32 v7, 0                                        // 000000004118: 7E0E0280
	s_mov_b64 exec, s[36:37]                                   // 00000000411C: BEFE0124
	v_mov_b32_e32 v6, v34                                      // 000000004120: 7E0C0322
	s_mov_b64 s[60:61], 0                                      // 000000004124: BEBC0180
	v_readlane_b32 s82, v3, 0                                  // 000000004128: D2890052 00010103
	s_and_b32 s82, s82, 0xffffff                               // 000000004130: 8652FF52 00FFFFFF
	s_cmp_lt_u32 s82, s66                                      // 000000004138: BF0A4252
	s_cselect_b32 s20, s36, s60                                // 00000000413C: 85143C24
	v_readlane_b32 s82, v3, 1                                  // 000000004140: D2890052 00010303
	s_and_b32 s82, s82, 0xffffff                               // 000000004148: 8652FF52 00FFFFFF
	s_cmp_lt_u32 s82, s66                                      // 000000004150: BF0A4252
	s_cselect_b32 s21, s36, s60                                // 000000004154: 85153C24
	s_mov_b64 exec, s[20:21]                                   // 000000004158: BEFE0114
	global_atomic_add_f32 v6, v48, s[8:9]                      // 00000000415C: DD348000 00083006
	global_atomic_add_f32 v6, v52, s[8:9] offset:256           // 000000004164: DD348100 00083406
	s_mov_b64 exec, s[36:37]                                   // 00000000416C: BEFE0124
	v_mov_b32_e32 v6, v35                                      // 000000004170: 7E0C0323
	s_mov_b64 s[60:61], 0                                      // 000000004174: BEBC0180
	v_readlane_b32 s82, v3, 2                                  // 000000004178: D2890052 00010503
	s_and_b32 s82, s82, 0xffffff                               // 000000004180: 8652FF52 00FFFFFF
	s_cmp_lt_u32 s82, s66                                      // 000000004188: BF0A4252
	s_cselect_b32 s20, s36, s60                                // 00000000418C: 85143C24
	v_readlane_b32 s82, v3, 3                                  // 000000004190: D2890052 00010703
	s_and_b32 s82, s82, 0xffffff                               // 000000004198: 8652FF52 00FFFFFF
	s_cmp_lt_u32 s82, s66                                      // 0000000041A0: BF0A4252
	s_cselect_b32 s21, s36, s60                                // 0000000041A4: 85153C24
	s_mov_b64 exec, s[20:21]                                   // 0000000041A8: BEFE0114
	global_atomic_add_f32 v6, v49, s[8:9]                      // 0000000041AC: DD348000 00083106
	global_atomic_add_f32 v6, v53, s[8:9] offset:256           // 0000000041B4: DD348100 00083506
	s_mov_b64 exec, s[36:37]                                   // 0000000041BC: BEFE0124
	ds_write_b64 v20, v[50:51]                                 // 0000000041C0: D89A0000 00003214
	ds_write_b64 v20, v[54:55] offset:2176                     // 0000000041C8: D89A0880 00003614
	s_waitcnt lgkmcnt(0)                                       // 0000000041D0: BF8CC07F
	s_barrier                                                  // 0000000041D4: BF8A0000
	ds_read_b32 v50, v21                                       // 0000000041D8: D86C0000 32000015
	ds_read_b32 v51, v21 offset:64                             // 0000000041E0: D86C0040 33000015
	ds_read_b32 v54, v21 offset:2176                           // 0000000041E8: D86C0880 36000015
	ds_read_b32 v55, v21 offset:2240                           // 0000000041F0: D86C08C0 37000015
	s_waitcnt lgkmcnt(0)                                       // 0000000041F8: BF8CC07F
	v_mov_b32_e32 v7, 0                                        // 0000000041FC: 7E0E0280
	s_mov_b64 exec, s[36:37]                                   // 000000004200: BEFE0124
	v_mov_b32_e32 v6, v34                                      // 000000004204: 7E0C0322
	s_mov_b64 s[60:61], 0                                      // 000000004208: BEBC0180
	v_readlane_b32 s82, v3, 0                                  // 00000000420C: D2890052 00010103
	s_and_b32 s82, s82, 0xffffff                               // 000000004214: 8652FF52 00FFFFFF
	s_cmp_lt_u32 s82, s66                                      // 00000000421C: BF0A4252
	s_cselect_b32 s20, s36, s60                                // 000000004220: 85143C24
	v_readlane_b32 s82, v3, 1                                  // 000000004224: D2890052 00010303
	s_and_b32 s82, s82, 0xffffff                               // 00000000422C: 8652FF52 00FFFFFF
	s_cmp_lt_u32 s82, s66                                      // 000000004234: BF0A4252
	s_cselect_b32 s21, s36, s60                                // 000000004238: 85153C24
	s_mov_b64 exec, s[20:21]                                   // 00000000423C: BEFE0114
	global_atomic_add_f32 v6, v50, s[8:9] offset:8             // 000000004240: DD348008 00083206
	global_atomic_add_f32 v6, v54, s[8:9] offset:264           // 000000004248: DD348108 00083606
	s_mov_b64 exec, s[36:37]                                   // 000000004250: BEFE0124
	v_mov_b32_e32 v6, v35                                      // 000000004254: 7E0C0323
	s_mov_b64 s[60:61], 0                                      // 000000004258: BEBC0180
	v_readlane_b32 s82, v3, 2                                  // 00000000425C: D2890052 00010503
	s_and_b32 s82, s82, 0xffffff                               // 000000004264: 8652FF52 00FFFFFF
	s_cmp_lt_u32 s82, s66                                      // 00000000426C: BF0A4252
	s_cselect_b32 s20, s36, s60                                // 000000004270: 85143C24
	v_readlane_b32 s82, v3, 3                                  // 000000004274: D2890052 00010703
	s_and_b32 s82, s82, 0xffffff                               // 00000000427C: 8652FF52 00FFFFFF
	s_cmp_lt_u32 s82, s66                                      // 000000004284: BF0A4252
	s_cselect_b32 s21, s36, s60                                // 000000004288: 85153C24
	s_mov_b64 exec, s[20:21]                                   // 00000000428C: BEFE0114
	global_atomic_add_f32 v6, v51, s[8:9] offset:8             // 000000004290: DD348008 00083306
	global_atomic_add_f32 v6, v55, s[8:9] offset:264           // 000000004298: DD348108 00083706
	s_mov_b64 exec, s[36:37]                                   // 0000000042A0: BEFE0124
	s_branch label_0AD3                                        // 0000000042A4: BF8204A6

00000000000042a8 <label_062D>:
	s_waitcnt vmcnt(6) lgkmcnt(0)                              // 0000000042A8: BF8C0076
	v_mfma_i32_16x16x32_i8 v[40:43], a[16:17], a[0:1], v[40:43]// 0000000042AC: D3D70028 1CA20110
	buffer_load_dwordx4 a[48:51], v36, s[24:27], 0 offen       // 0000000042B4: E05C1000 80863024
	v_mfma_i32_16x16x32_i8 v[40:43], a[18:19], a[2:3], v[40:43]// 0000000042BC: D3D70028 1CA20512
	v_mfma_i32_16x16x32_i8 v[40:43], a[20:21], a[4:5], v[40:43]// 0000000042C4: D3D70028 1CA20914
	v_mfma_i32_16x16x32_i8 v[40:43], a[22:23], a[6:7], v[40:43]// 0000000042CC: D3D70028 1CA20D16
	v_mfma_i32_16x16x32_i8 v[44:47], a[24:25], a[0:1], v[44:47]// 0000000042D4: D3D7002C 1CB20118
	buffer_load_dwordx4 a[52:55], v36, s[24:27], 0 offen offset:1024// 0000000042DC: E05C1400 80863424
	v_mfma_i32_16x16x32_i8 v[44:47], a[26:27], a[2:3], v[44:47]// 0000000042E4: D3D7002C 1CB2051A
	v_mfma_i32_16x16x32_i8 v[44:47], a[28:29], a[4:5], v[44:47]// 0000000042EC: D3D7002C 1CB2091C
	v_mfma_i32_16x16x32_i8 v[44:47], a[30:31], a[6:7], v[44:47]// 0000000042F4: D3D7002C 1CB20D1E
	buffer_load_dwordx4 a[56:59], v37, s[24:27], 0 offen       // 0000000042FC: E05C1000 80863825
	buffer_load_dwordx4 a[60:63], v37, s[24:27], 0 offen offset:1024// 000000004304: E05C1400 80863C25
	buffer_load_dword v34, s[20:23], 0 offen lds               // 00000000430C: E0511000 80050022
	s_add_u32 m0, 0x100, s50                                   // 000000004314: 807C32FF 00000100
	buffer_load_dword v35, s[20:23], 0 offen lds               // 00000000431C: E0511000 80050023
	s_add_u32 m0, 0, s48                                       // 000000004324: 807C3080
	s_waitcnt vmcnt(6)                                         // 000000004328: BF8C0F76
	s_barrier                                                  // 00000000432C: BF8A0000
	v_mfma_i32_16x16x32_i8 v[48:51], a[32:33], a[0:1], v[48:51]// 000000004330: D3D70030 1CC20120
	buffer_load_dwordx4 a[16:19], v36, s[84:87], 0 offen       // 000000004338: E05C1000 80951024
	s_add_u32 s60, 0x180, s80                                  // 000000004340: 803C50FF 00000180
	s_cmp_lt_u32 s60, s81                                      // 000000004348: BF0A513C
	s_cselect_b32 s57, s57, 0                                  // 00000000434C: 85398039
	v_mfma_i32_16x16x32_i8 v[48:51], a[34:35], a[2:3], v[48:51]// 000000004350: D3D70030 1CC20522
	s_add_u32 s60, 0x100, s80                                  // 000000004358: 803C50FF 00000100
	s_cmp_lt_u32 s60, s81                                      // 000000004360: BF0A513C
	s_cselect_b32 s58, s58, 0                                  // 000000004364: 853A803A
	v_mfma_i32_16x16x32_i8 v[48:51], a[36:37], a[4:5], v[48:51]// 000000004368: D3D70030 1CC20924
	ds_read_b128 a[8:11], v2 offset:2176                       // 000000004370: DBFE0880 08000002
	ds_read_b128 a[12:15], v2 offset:2240                      // 000000004378: DBFE08C0 0C000002
	s_add_u32 s60, 0x100, s80                                  // 000000004380: 803C50FF 00000100
	s_cmp_lt_u32 s60, s81                                      // 000000004388: BF0A513C
	s_cselect_b32 s83, s83, 0                                  // 00000000438C: 85538053
	v_mfma_i32_16x16x32_i8 v[48:51], a[38:39], a[6:7], v[48:51]// 000000004390: D3D70030 1CC20D26
	s_add_u32 s24, s58, s24                                    // 000000004398: 8018183A
	s_addc_u32 s25, 0, s25                                     // 00000000439C: 82191980
	v_mfma_i32_16x16x32_i8 v[52:55], a[40:41], a[0:1], v[52:55]// 0000000043A0: D3D70034 1CD20128
	buffer_load_dwordx4 a[20:23], v36, s[84:87], 0 offen offset:1024// 0000000043A8: E05C1400 80951424
	s_add_u32 s20, s57, s20                                    // 0000000043B0: 80141439
	s_addc_u32 s21, 0, s21                                     // 0000000043B4: 82151580
	v_mfma_i32_16x16x32_i8 v[52:55], a[42:43], a[2:3], v[52:55]// 0000000043B8: D3D70034 1CD2052A
	v_mfma_i32_16x16x32_i8 v[52:55], a[44:45], a[4:5], v[52:55]// 0000000043C0: D3D70034 1CD2092C
	v_mfma_i32_16x16x32_i8 v[52:55], a[46:47], a[6:7], v[52:55]// 0000000043C8: D3D70034 1CD20D2E
	buffer_load_dwordx4 a[24:27], v37, s[84:87], 0 offen       // 0000000043D0: E05C1000 80951825
	buffer_load_dwordx4 a[28:31], v37, s[84:87], 0 offen offset:1024// 0000000043D8: E05C1400 80951C25
	s_add_u32 s84, s83, s84                                    // 0000000043E0: 80545453
	s_addc_u32 s85, 0, s85                                     // 0000000043E4: 82555580
	s_addk_i32 s80, 0x80                                       // 0000000043E8: B7500080
	s_cmp_lt_i32 s80, s81                                      // 0000000043EC: BF045150
	s_cbranch_scc0 label_0820                                  // 0000000043F0: BF8401A0
	s_waitcnt vmcnt(6) lgkmcnt(0)                              // 0000000043F4: BF8C0076
	v_mfma_i32_16x16x32_i8 v[40:43], a[48:49], a[8:9], v[40:43]// 0000000043F8: D3D70028 1CA21130
	buffer_load_dwordx4 a[32:35], v36, s[24:27], 0 offen       // 000000004400: E05C1000 80862024
	v_mfma_i32_16x16x32_i8 v[40:43], a[50:51], a[10:11], v[40:43]// 000000004408: D3D70028 1CA21532
	v_mfma_i32_16x16x32_i8 v[40:43], a[52:53], a[12:13], v[40:43]// 000000004410: D3D70028 1CA21934
	v_mfma_i32_16x16x32_i8 v[40:43], a[54:55], a[14:15], v[40:43]// 000000004418: D3D70028 1CA21D36
	v_mfma_i32_16x16x32_i8 v[44:47], a[56:57], a[8:9], v[44:47]// 000000004420: D3D7002C 1CB21138
	buffer_load_dwordx4 a[36:39], v36, s[24:27], 0 offen offset:1024// 000000004428: E05C1400 80862424
	v_mfma_i32_16x16x32_i8 v[44:47], a[58:59], a[10:11], v[44:47]// 000000004430: D3D7002C 1CB2153A
	v_mfma_i32_16x16x32_i8 v[44:47], a[60:61], a[12:13], v[44:47]// 000000004438: D3D7002C 1CB2193C
	v_mfma_i32_16x16x32_i8 v[44:47], a[62:63], a[14:15], v[44:47]// 000000004440: D3D7002C 1CB21D3E
	buffer_load_dwordx4 a[40:43], v37, s[24:27], 0 offen       // 000000004448: E05C1000 80862825
	buffer_load_dwordx4 a[44:47], v37, s[24:27], 0 offen offset:1024// 000000004450: E05C1400 80862C25
	buffer_load_dword v34, s[20:23], 0 offen lds               // 000000004458: E0511000 80050022
	s_add_u32 m0, 0x100, s48                                   // 000000004460: 807C30FF 00000100
	buffer_load_dword v35, s[20:23], 0 offen lds               // 000000004468: E0511000 80050023
	s_add_u32 m0, 0, s49                                       // 000000004470: 807C3180
	s_waitcnt vmcnt(6)                                         // 000000004474: BF8C0F76
	s_barrier                                                  // 000000004478: BF8A0000
	v_mfma_i32_16x16x32_i8 v[48:51], a[16:17], a[8:9], v[48:51]// 00000000447C: D3D70030 1CC21110
	buffer_load_dwordx4 a[48:51], v36, s[84:87], 0 offen       // 000000004484: E05C1000 80953024
	s_add_u32 s60, 0x180, s80                                  // 00000000448C: 803C50FF 00000180
	s_cmp_lt_u32 s60, s81                                      // 000000004494: BF0A513C
	s_cselect_b32 s57, s57, 0                                  // 000000004498: 85398039
	v_mfma_i32_16x16x32_i8 v[48:51], a[18:19], a[10:11], v[48:51]// 00000000449C: D3D70030 1CC21512
	s_add_u32 s60, 0x100, s80                                  // 0000000044A4: 803C50FF 00000100
	s_cmp_lt_u32 s60, s81                                      // 0000000044AC: BF0A513C
	s_cselect_b32 s58, s58, 0                                  // 0000000044B0: 853A803A
	v_mfma_i32_16x16x32_i8 v[48:51], a[20:21], a[12:13], v[48:51]// 0000000044B4: D3D70030 1CC21914
	ds_read_b128 a[0:3], v2 offset:4352                        // 0000000044BC: DBFE1100 00000002
	ds_read_b128 a[4:7], v2 offset:4416                        // 0000000044C4: DBFE1140 04000002
	s_add_u32 s60, 0x100, s80                                  // 0000000044CC: 803C50FF 00000100
	s_cmp_lt_u32 s60, s81                                      // 0000000044D4: BF0A513C
	s_cselect_b32 s83, s83, 0                                  // 0000000044D8: 85538053
	v_mfma_i32_16x16x32_i8 v[48:51], a[22:23], a[14:15], v[48:51]// 0000000044DC: D3D70030 1CC21D16
	s_add_u32 s24, s58, s24                                    // 0000000044E4: 8018183A
	s_addc_u32 s25, 0, s25                                     // 0000000044E8: 82191980
	v_mfma_i32_16x16x32_i8 v[52:55], a[24:25], a[8:9], v[52:55]// 0000000044EC: D3D70034 1CD21118
	buffer_load_dwordx4 a[52:55], v36, s[84:87], 0 offen offset:1024// 0000000044F4: E05C1400 80953424
	s_add_u32 s20, s57, s20                                    // 0000000044FC: 80141439
	s_addc_u32 s21, 0, s21                                     // 000000004500: 82151580
	v_mfma_i32_16x16x32_i8 v[52:55], a[26:27], a[10:11], v[52:55]// 000000004504: D3D70034 1CD2151A
	v_mfma_i32_16x16x32_i8 v[52:55], a[28:29], a[12:13], v[52:55]// 00000000450C: D3D70034 1CD2191C
	v_mfma_i32_16x16x32_i8 v[52:55], a[30:31], a[14:15], v[52:55]// 000000004514: D3D70034 1CD21D1E
	buffer_load_dwordx4 a[56:59], v37, s[84:87], 0 offen       // 00000000451C: E05C1000 80953825
	buffer_load_dwordx4 a[60:63], v37, s[84:87], 0 offen offset:1024// 000000004524: E05C1400 80953C25
	s_add_u32 s84, s83, s84                                    // 00000000452C: 80545453
	s_addc_u32 s85, 0, s85                                     // 000000004530: 82555580
	s_addk_i32 s80, 0x80                                       // 000000004534: B7500080
	s_cmp_lt_i32 s80, s81                                      // 000000004538: BF045150
	s_cbranch_scc0 label_0820                                  // 00000000453C: BF84014D
	s_waitcnt vmcnt(6) lgkmcnt(0)                              // 000000004540: BF8C0076
	v_mfma_i32_16x16x32_i8 v[40:43], a[32:33], a[0:1], v[40:43]// 000000004544: D3D70028 1CA20120
	buffer_load_dwordx4 a[16:19], v36, s[24:27], 0 offen       // 00000000454C: E05C1000 80861024
	v_mfma_i32_16x16x32_i8 v[40:43], a[34:35], a[2:3], v[40:43]// 000000004554: D3D70028 1CA20522
	v_mfma_i32_16x16x32_i8 v[40:43], a[36:37], a[4:5], v[40:43]// 00000000455C: D3D70028 1CA20924
	v_mfma_i32_16x16x32_i8 v[40:43], a[38:39], a[6:7], v[40:43]// 000000004564: D3D70028 1CA20D26
	v_mfma_i32_16x16x32_i8 v[44:47], a[40:41], a[0:1], v[44:47]// 00000000456C: D3D7002C 1CB20128
	buffer_load_dwordx4 a[20:23], v36, s[24:27], 0 offen offset:1024// 000000004574: E05C1400 80861424
	v_mfma_i32_16x16x32_i8 v[44:47], a[42:43], a[2:3], v[44:47]// 00000000457C: D3D7002C 1CB2052A
	v_mfma_i32_16x16x32_i8 v[44:47], a[44:45], a[4:5], v[44:47]// 000000004584: D3D7002C 1CB2092C
	v_mfma_i32_16x16x32_i8 v[44:47], a[46:47], a[6:7], v[44:47]// 00000000458C: D3D7002C 1CB20D2E
	buffer_load_dwordx4 a[24:27], v37, s[24:27], 0 offen       // 000000004594: E05C1000 80861825
	buffer_load_dwordx4 a[28:31], v37, s[24:27], 0 offen offset:1024// 00000000459C: E05C1400 80861C25
	buffer_load_dword v34, s[20:23], 0 offen lds               // 0000000045A4: E0511000 80050022
	s_add_u32 m0, 0x100, s49                                   // 0000000045AC: 807C31FF 00000100
	buffer_load_dword v35, s[20:23], 0 offen lds               // 0000000045B4: E0511000 80050023
	s_add_u32 m0, 0, s50                                       // 0000000045BC: 807C3280
	s_waitcnt vmcnt(6)                                         // 0000000045C0: BF8C0F76
	s_barrier                                                  // 0000000045C4: BF8A0000
	v_mfma_i32_16x16x32_i8 v[48:51], a[48:49], a[0:1], v[48:51]// 0000000045C8: D3D70030 1CC20130
	buffer_load_dwordx4 a[32:35], v36, s[84:87], 0 offen       // 0000000045D0: E05C1000 80952024
	s_add_u32 s60, 0x180, s80                                  // 0000000045D8: 803C50FF 00000180
	s_cmp_lt_u32 s60, s81                                      // 0000000045E0: BF0A513C
	s_cselect_b32 s57, s57, 0                                  // 0000000045E4: 85398039
	v_mfma_i32_16x16x32_i8 v[48:51], a[50:51], a[2:3], v[48:51]// 0000000045E8: D3D70030 1CC20532
	s_add_u32 s60, 0x100, s80                                  // 0000000045F0: 803C50FF 00000100
	s_cmp_lt_u32 s60, s81                                      // 0000000045F8: BF0A513C
	s_cselect_b32 s58, s58, 0                                  // 0000000045FC: 853A803A
	v_mfma_i32_16x16x32_i8 v[48:51], a[52:53], a[4:5], v[48:51]// 000000004600: D3D70030 1CC20934
	ds_read_b128 a[8:11], v2                                   // 000000004608: DBFE0000 08000002
	ds_read_b128 a[12:15], v2 offset:64                        // 000000004610: DBFE0040 0C000002
	s_add_u32 s60, 0x100, s80                                  // 000000004618: 803C50FF 00000100
	s_cmp_lt_u32 s60, s81                                      // 000000004620: BF0A513C
	s_cselect_b32 s83, s83, 0                                  // 000000004624: 85538053
	v_mfma_i32_16x16x32_i8 v[48:51], a[54:55], a[6:7], v[48:51]// 000000004628: D3D70030 1CC20D36
	s_add_u32 s24, s58, s24                                    // 000000004630: 8018183A
	s_addc_u32 s25, 0, s25                                     // 000000004634: 82191980
	v_mfma_i32_16x16x32_i8 v[52:55], a[56:57], a[0:1], v[52:55]// 000000004638: D3D70034 1CD20138
	buffer_load_dwordx4 a[36:39], v36, s[84:87], 0 offen offset:1024// 000000004640: E05C1400 80952424
	s_add_u32 s20, s57, s20                                    // 000000004648: 80141439
	s_addc_u32 s21, 0, s21                                     // 00000000464C: 82151580
	v_mfma_i32_16x16x32_i8 v[52:55], a[58:59], a[2:3], v[52:55]// 000000004650: D3D70034 1CD2053A
	v_mfma_i32_16x16x32_i8 v[52:55], a[60:61], a[4:5], v[52:55]// 000000004658: D3D70034 1CD2093C
	v_mfma_i32_16x16x32_i8 v[52:55], a[62:63], a[6:7], v[52:55]// 000000004660: D3D70034 1CD20D3E
	buffer_load_dwordx4 a[40:43], v37, s[84:87], 0 offen       // 000000004668: E05C1000 80952825
	buffer_load_dwordx4 a[44:47], v37, s[84:87], 0 offen offset:1024// 000000004670: E05C1400 80952C25
	s_add_u32 s84, s83, s84                                    // 000000004678: 80545453
	s_addc_u32 s85, 0, s85                                     // 00000000467C: 82555580
	s_addk_i32 s80, 0x80                                       // 000000004680: B7500080
	s_cmp_lt_i32 s80, s81                                      // 000000004684: BF045150
	s_cbranch_scc0 label_0820                                  // 000000004688: BF8400FA
	s_waitcnt vmcnt(6) lgkmcnt(0)                              // 00000000468C: BF8C0076
	v_mfma_i32_16x16x32_i8 v[40:43], a[16:17], a[8:9], v[40:43]// 000000004690: D3D70028 1CA21110
	buffer_load_dwordx4 a[48:51], v36, s[24:27], 0 offen       // 000000004698: E05C1000 80863024
	v_mfma_i32_16x16x32_i8 v[40:43], a[18:19], a[10:11], v[40:43]// 0000000046A0: D3D70028 1CA21512
	v_mfma_i32_16x16x32_i8 v[40:43], a[20:21], a[12:13], v[40:43]// 0000000046A8: D3D70028 1CA21914
	v_mfma_i32_16x16x32_i8 v[40:43], a[22:23], a[14:15], v[40:43]// 0000000046B0: D3D70028 1CA21D16
	v_mfma_i32_16x16x32_i8 v[44:47], a[24:25], a[8:9], v[44:47]// 0000000046B8: D3D7002C 1CB21118
	buffer_load_dwordx4 a[52:55], v36, s[24:27], 0 offen offset:1024// 0000000046C0: E05C1400 80863424
	v_mfma_i32_16x16x32_i8 v[44:47], a[26:27], a[10:11], v[44:47]// 0000000046C8: D3D7002C 1CB2151A
	v_mfma_i32_16x16x32_i8 v[44:47], a[28:29], a[12:13], v[44:47]// 0000000046D0: D3D7002C 1CB2191C
	v_mfma_i32_16x16x32_i8 v[44:47], a[30:31], a[14:15], v[44:47]// 0000000046D8: D3D7002C 1CB21D1E
	buffer_load_dwordx4 a[56:59], v37, s[24:27], 0 offen       // 0000000046E0: E05C1000 80863825
	buffer_load_dwordx4 a[60:63], v37, s[24:27], 0 offen offset:1024// 0000000046E8: E05C1400 80863C25
	buffer_load_dword v34, s[20:23], 0 offen lds               // 0000000046F0: E0511000 80050022
	s_add_u32 m0, 0x100, s50                                   // 0000000046F8: 807C32FF 00000100
	buffer_load_dword v35, s[20:23], 0 offen lds               // 000000004700: E0511000 80050023
	s_add_u32 m0, 0, s48                                       // 000000004708: 807C3080
	s_waitcnt vmcnt(6)                                         // 00000000470C: BF8C0F76
	s_barrier                                                  // 000000004710: BF8A0000
	v_mfma_i32_16x16x32_i8 v[48:51], a[32:33], a[8:9], v[48:51]// 000000004714: D3D70030 1CC21120
	buffer_load_dwordx4 a[16:19], v36, s[84:87], 0 offen       // 00000000471C: E05C1000 80951024
	s_add_u32 s60, 0x180, s80                                  // 000000004724: 803C50FF 00000180
	s_cmp_lt_u32 s60, s81                                      // 00000000472C: BF0A513C
	s_cselect_b32 s57, s57, 0                                  // 000000004730: 85398039
	v_mfma_i32_16x16x32_i8 v[48:51], a[34:35], a[10:11], v[48:51]// 000000004734: D3D70030 1CC21522
	s_add_u32 s60, 0x100, s80                                  // 00000000473C: 803C50FF 00000100
	s_cmp_lt_u32 s60, s81                                      // 000000004744: BF0A513C
	s_cselect_b32 s58, s58, 0                                  // 000000004748: 853A803A
	v_mfma_i32_16x16x32_i8 v[48:51], a[36:37], a[12:13], v[48:51]// 00000000474C: D3D70030 1CC21924
	ds_read_b128 a[0:3], v2 offset:2176                        // 000000004754: DBFE0880 00000002
	ds_read_b128 a[4:7], v2 offset:2240                        // 00000000475C: DBFE08C0 04000002
	s_add_u32 s60, 0x100, s80                                  // 000000004764: 803C50FF 00000100
	s_cmp_lt_u32 s60, s81                                      // 00000000476C: BF0A513C
	s_cselect_b32 s83, s83, 0                                  // 000000004770: 85538053
	v_mfma_i32_16x16x32_i8 v[48:51], a[38:39], a[14:15], v[48:51]// 000000004774: D3D70030 1CC21D26
	s_add_u32 s24, s58, s24                                    // 00000000477C: 8018183A
	s_addc_u32 s25, 0, s25                                     // 000000004780: 82191980
	v_mfma_i32_16x16x32_i8 v[52:55], a[40:41], a[8:9], v[52:55]// 000000004784: D3D70034 1CD21128
	buffer_load_dwordx4 a[20:23], v36, s[84:87], 0 offen offset:1024// 00000000478C: E05C1400 80951424
	s_add_u32 s20, s57, s20                                    // 000000004794: 80141439
	s_addc_u32 s21, 0, s21                                     // 000000004798: 82151580
	v_mfma_i32_16x16x32_i8 v[52:55], a[42:43], a[10:11], v[52:55]// 00000000479C: D3D70034 1CD2152A
	v_mfma_i32_16x16x32_i8 v[52:55], a[44:45], a[12:13], v[52:55]// 0000000047A4: D3D70034 1CD2192C
	v_mfma_i32_16x16x32_i8 v[52:55], a[46:47], a[14:15], v[52:55]// 0000000047AC: D3D70034 1CD21D2E
	buffer_load_dwordx4 a[24:27], v37, s[84:87], 0 offen       // 0000000047B4: E05C1000 80951825
	buffer_load_dwordx4 a[28:31], v37, s[84:87], 0 offen offset:1024// 0000000047BC: E05C1400 80951C25
	s_add_u32 s84, s83, s84                                    // 0000000047C4: 80545453
	s_addc_u32 s85, 0, s85                                     // 0000000047C8: 82555580
	s_addk_i32 s80, 0x80                                       // 0000000047CC: B7500080
	s_cmp_lt_i32 s80, s81                                      // 0000000047D0: BF045150
	s_cbranch_scc0 label_0820                                  // 0000000047D4: BF8400A7
	s_waitcnt vmcnt(6) lgkmcnt(0)                              // 0000000047D8: BF8C0076
	v_mfma_i32_16x16x32_i8 v[40:43], a[48:49], a[0:1], v[40:43]// 0000000047DC: D3D70028 1CA20130
	buffer_load_dwordx4 a[32:35], v36, s[24:27], 0 offen       // 0000000047E4: E05C1000 80862024
	v_mfma_i32_16x16x32_i8 v[40:43], a[50:51], a[2:3], v[40:43]// 0000000047EC: D3D70028 1CA20532
	v_mfma_i32_16x16x32_i8 v[40:43], a[52:53], a[4:5], v[40:43]// 0000000047F4: D3D70028 1CA20934
	v_mfma_i32_16x16x32_i8 v[40:43], a[54:55], a[6:7], v[40:43]// 0000000047FC: D3D70028 1CA20D36
	v_mfma_i32_16x16x32_i8 v[44:47], a[56:57], a[0:1], v[44:47]// 000000004804: D3D7002C 1CB20138
	buffer_load_dwordx4 a[36:39], v36, s[24:27], 0 offen offset:1024// 00000000480C: E05C1400 80862424
	v_mfma_i32_16x16x32_i8 v[44:47], a[58:59], a[2:3], v[44:47]// 000000004814: D3D7002C 1CB2053A
	v_mfma_i32_16x16x32_i8 v[44:47], a[60:61], a[4:5], v[44:47]// 00000000481C: D3D7002C 1CB2093C
	v_mfma_i32_16x16x32_i8 v[44:47], a[62:63], a[6:7], v[44:47]// 000000004824: D3D7002C 1CB20D3E
	buffer_load_dwordx4 a[40:43], v37, s[24:27], 0 offen       // 00000000482C: E05C1000 80862825
	buffer_load_dwordx4 a[44:47], v37, s[24:27], 0 offen offset:1024// 000000004834: E05C1400 80862C25
	buffer_load_dword v34, s[20:23], 0 offen lds               // 00000000483C: E0511000 80050022
	s_add_u32 m0, 0x100, s48                                   // 000000004844: 807C30FF 00000100
	buffer_load_dword v35, s[20:23], 0 offen lds               // 00000000484C: E0511000 80050023
	s_add_u32 m0, 0, s49                                       // 000000004854: 807C3180
	s_waitcnt vmcnt(6)                                         // 000000004858: BF8C0F76
	s_barrier                                                  // 00000000485C: BF8A0000
	v_mfma_i32_16x16x32_i8 v[48:51], a[16:17], a[0:1], v[48:51]// 000000004860: D3D70030 1CC20110
	buffer_load_dwordx4 a[48:51], v36, s[84:87], 0 offen       // 000000004868: E05C1000 80953024
	s_add_u32 s60, 0x180, s80                                  // 000000004870: 803C50FF 00000180
	s_cmp_lt_u32 s60, s81                                      // 000000004878: BF0A513C
	s_cselect_b32 s57, s57, 0                                  // 00000000487C: 85398039
	v_mfma_i32_16x16x32_i8 v[48:51], a[18:19], a[2:3], v[48:51]// 000000004880: D3D70030 1CC20512
	s_add_u32 s60, 0x100, s80                                  // 000000004888: 803C50FF 00000100
	s_cmp_lt_u32 s60, s81                                      // 000000004890: BF0A513C
	s_cselect_b32 s58, s58, 0                                  // 000000004894: 853A803A
	v_mfma_i32_16x16x32_i8 v[48:51], a[20:21], a[4:5], v[48:51]// 000000004898: D3D70030 1CC20914
	ds_read_b128 a[8:11], v2 offset:4352                       // 0000000048A0: DBFE1100 08000002
	ds_read_b128 a[12:15], v2 offset:4416                      // 0000000048A8: DBFE1140 0C000002
	s_add_u32 s60, 0x100, s80                                  // 0000000048B0: 803C50FF 00000100
	s_cmp_lt_u32 s60, s81                                      // 0000000048B8: BF0A513C
	s_cselect_b32 s83, s83, 0                                  // 0000000048BC: 85538053
	v_mfma_i32_16x16x32_i8 v[48:51], a[22:23], a[6:7], v[48:51]// 0000000048C0: D3D70030 1CC20D16
	s_add_u32 s24, s58, s24                                    // 0000000048C8: 8018183A
	s_addc_u32 s25, 0, s25                                     // 0000000048CC: 82191980
	v_mfma_i32_16x16x32_i8 v[52:55], a[24:25], a[0:1], v[52:55]// 0000000048D0: D3D70034 1CD20118
	buffer_load_dwordx4 a[52:55], v36, s[84:87], 0 offen offset:1024// 0000000048D8: E05C1400 80953424
	s_add_u32 s20, s57, s20                                    // 0000000048E0: 80141439
	s_addc_u32 s21, 0, s21                                     // 0000000048E4: 82151580
	v_mfma_i32_16x16x32_i8 v[52:55], a[26:27], a[2:3], v[52:55]// 0000000048E8: D3D70034 1CD2051A
	v_mfma_i32_16x16x32_i8 v[52:55], a[28:29], a[4:5], v[52:55]// 0000000048F0: D3D70034 1CD2091C
	v_mfma_i32_16x16x32_i8 v[52:55], a[30:31], a[6:7], v[52:55]// 0000000048F8: D3D70034 1CD20D1E
	buffer_load_dwordx4 a[56:59], v37, s[84:87], 0 offen       // 000000004900: E05C1000 80953825
	buffer_load_dwordx4 a[60:63], v37, s[84:87], 0 offen offset:1024// 000000004908: E05C1400 80953C25
	s_add_u32 s84, s83, s84                                    // 000000004910: 80545453
	s_addc_u32 s85, 0, s85                                     // 000000004914: 82555580
	s_addk_i32 s80, 0x80                                       // 000000004918: B7500080
	s_cmp_lt_i32 s80, s81                                      // 00000000491C: BF045150
	s_cbranch_scc0 label_0820                                  // 000000004920: BF840054
	s_waitcnt vmcnt(6) lgkmcnt(0)                              // 000000004924: BF8C0076
	v_mfma_i32_16x16x32_i8 v[40:43], a[32:33], a[8:9], v[40:43]// 000000004928: D3D70028 1CA21120
	buffer_load_dwordx4 a[16:19], v36, s[24:27], 0 offen       // 000000004930: E05C1000 80861024
	v_mfma_i32_16x16x32_i8 v[40:43], a[34:35], a[10:11], v[40:43]// 000000004938: D3D70028 1CA21522
	v_mfma_i32_16x16x32_i8 v[40:43], a[36:37], a[12:13], v[40:43]// 000000004940: D3D70028 1CA21924
	v_mfma_i32_16x16x32_i8 v[40:43], a[38:39], a[14:15], v[40:43]// 000000004948: D3D70028 1CA21D26
	v_mfma_i32_16x16x32_i8 v[44:47], a[40:41], a[8:9], v[44:47]// 000000004950: D3D7002C 1CB21128
	buffer_load_dwordx4 a[20:23], v36, s[24:27], 0 offen offset:1024// 000000004958: E05C1400 80861424
	v_mfma_i32_16x16x32_i8 v[44:47], a[42:43], a[10:11], v[44:47]// 000000004960: D3D7002C 1CB2152A
	v_mfma_i32_16x16x32_i8 v[44:47], a[44:45], a[12:13], v[44:47]// 000000004968: D3D7002C 1CB2192C
	v_mfma_i32_16x16x32_i8 v[44:47], a[46:47], a[14:15], v[44:47]// 000000004970: D3D7002C 1CB21D2E
	buffer_load_dwordx4 a[24:27], v37, s[24:27], 0 offen       // 000000004978: E05C1000 80861825
	buffer_load_dwordx4 a[28:31], v37, s[24:27], 0 offen offset:1024// 000000004980: E05C1400 80861C25
	buffer_load_dword v34, s[20:23], 0 offen lds               // 000000004988: E0511000 80050022
	s_add_u32 m0, 0x100, s49                                   // 000000004990: 807C31FF 00000100
	buffer_load_dword v35, s[20:23], 0 offen lds               // 000000004998: E0511000 80050023
	s_add_u32 m0, 0, s50                                       // 0000000049A0: 807C3280
	s_waitcnt vmcnt(6)                                         // 0000000049A4: BF8C0F76
	s_barrier                                                  // 0000000049A8: BF8A0000
	v_mfma_i32_16x16x32_i8 v[48:51], a[48:49], a[8:9], v[48:51]// 0000000049AC: D3D70030 1CC21130
	buffer_load_dwordx4 a[32:35], v36, s[84:87], 0 offen       // 0000000049B4: E05C1000 80952024
	s_add_u32 s60, 0x180, s80                                  // 0000000049BC: 803C50FF 00000180
	s_cmp_lt_u32 s60, s81                                      // 0000000049C4: BF0A513C
	s_cselect_b32 s57, s57, 0                                  // 0000000049C8: 85398039
	v_mfma_i32_16x16x32_i8 v[48:51], a[50:51], a[10:11], v[48:51]// 0000000049CC: D3D70030 1CC21532
	s_add_u32 s60, 0x100, s80                                  // 0000000049D4: 803C50FF 00000100
	s_cmp_lt_u32 s60, s81                                      // 0000000049DC: BF0A513C
	s_cselect_b32 s58, s58, 0                                  // 0000000049E0: 853A803A
	v_mfma_i32_16x16x32_i8 v[48:51], a[52:53], a[12:13], v[48:51]// 0000000049E4: D3D70030 1CC21934
	ds_read_b128 a[0:3], v2                                    // 0000000049EC: DBFE0000 00000002
	ds_read_b128 a[4:7], v2 offset:64                          // 0000000049F4: DBFE0040 04000002
	s_add_u32 s60, 0x100, s80                                  // 0000000049FC: 803C50FF 00000100
	s_cmp_lt_u32 s60, s81                                      // 000000004A04: BF0A513C
	s_cselect_b32 s83, s83, 0                                  // 000000004A08: 85538053
	v_mfma_i32_16x16x32_i8 v[48:51], a[54:55], a[14:15], v[48:51]// 000000004A0C: D3D70030 1CC21D36
	s_add_u32 s24, s58, s24                                    // 000000004A14: 8018183A
	s_addc_u32 s25, 0, s25                                     // 000000004A18: 82191980
	v_mfma_i32_16x16x32_i8 v[52:55], a[56:57], a[8:9], v[52:55]// 000000004A1C: D3D70034 1CD21138
	buffer_load_dwordx4 a[36:39], v36, s[84:87], 0 offen offset:1024// 000000004A24: E05C1400 80952424
	s_add_u32 s20, s57, s20                                    // 000000004A2C: 80141439
	s_addc_u32 s21, 0, s21                                     // 000000004A30: 82151580
	v_mfma_i32_16x16x32_i8 v[52:55], a[58:59], a[10:11], v[52:55]// 000000004A34: D3D70034 1CD2153A
	v_mfma_i32_16x16x32_i8 v[52:55], a[60:61], a[12:13], v[52:55]// 000000004A3C: D3D70034 1CD2193C
	v_mfma_i32_16x16x32_i8 v[52:55], a[62:63], a[14:15], v[52:55]// 000000004A44: D3D70034 1CD21D3E
	buffer_load_dwordx4 a[40:43], v37, s[84:87], 0 offen       // 000000004A4C: E05C1000 80952825
	buffer_load_dwordx4 a[44:47], v37, s[84:87], 0 offen offset:1024// 000000004A54: E05C1400 80952C25
	s_add_u32 s84, s83, s84                                    // 000000004A5C: 80545453
	s_addc_u32 s85, 0, s85                                     // 000000004A60: 82555580
	s_addk_i32 s80, 0x80                                       // 000000004A64: B7500080
	s_cmp_lt_i32 s80, s81                                      // 000000004A68: BF045150
	s_cbranch_scc0 label_0820                                  // 000000004A6C: BF840001
	s_branch label_062D                                        // 000000004A70: BF82FE0D

0000000000004a74 <label_0820>:
	v_cvt_f32_i32_e32 v40, v40                                 // 000000004A74: 7E500B28
	v_cvt_f32_i32_e32 v41, v41                                 // 000000004A78: 7E520B29
	v_cvt_f32_i32_e32 v42, v42                                 // 000000004A7C: 7E540B2A
	v_cvt_f32_i32_e32 v43, v43                                 // 000000004A80: 7E560B2B
	v_mul_f32_dpp v40, v24, v40 row_newbcast:0 row_mask:0xf bank_mask:0xf// 000000004A84: 0A5050FA FF015018
	v_mul_f32_dpp v41, v24, v41 row_newbcast:1 row_mask:0xf bank_mask:0xf// 000000004A8C: 0A5252FA FF015118
	v_mul_f32_dpp v42, v24, v42 row_newbcast:2 row_mask:0xf bank_mask:0xf// 000000004A94: 0A5454FA FF015218
	v_mul_f32_dpp v43, v24, v43 row_newbcast:3 row_mask:0xf bank_mask:0xf// 000000004A9C: 0A5656FA FF015318
	v_cvt_f32_i32_e32 v44, v44                                 // 000000004AA4: 7E580B2C
	v_cvt_f32_i32_e32 v45, v45                                 // 000000004AA8: 7E5A0B2D
	v_cvt_f32_i32_e32 v46, v46                                 // 000000004AAC: 7E5C0B2E
	v_cvt_f32_i32_e32 v47, v47                                 // 000000004AB0: 7E5E0B2F
	v_mul_f32_dpp v44, v24, v44 row_newbcast:4 row_mask:0xf bank_mask:0xf// 000000004AB4: 0A5858FA FF015418
	v_mul_f32_dpp v45, v24, v45 row_newbcast:5 row_mask:0xf bank_mask:0xf// 000000004ABC: 0A5A5AFA FF015518
	v_mul_f32_dpp v46, v24, v46 row_newbcast:6 row_mask:0xf bank_mask:0xf// 000000004AC4: 0A5C5CFA FF015618
	v_mul_f32_dpp v47, v24, v47 row_newbcast:7 row_mask:0xf bank_mask:0xf// 000000004ACC: 0A5E5EFA FF015718
	v_cvt_f32_i32_e32 v48, v48                                 // 000000004AD4: 7E600B30
	v_cvt_f32_i32_e32 v49, v49                                 // 000000004AD8: 7E620B31
	v_cvt_f32_i32_e32 v50, v50                                 // 000000004ADC: 7E640B32
	v_cvt_f32_i32_e32 v51, v51                                 // 000000004AE0: 7E660B33
	v_mul_f32_dpp v48, v27, v48 row_newbcast:0 row_mask:0xf bank_mask:0xf// 000000004AE4: 0A6060FA FF01501B
	v_mul_f32_dpp v49, v27, v49 row_newbcast:1 row_mask:0xf bank_mask:0xf// 000000004AEC: 0A6262FA FF01511B
	v_mul_f32_dpp v50, v27, v50 row_newbcast:2 row_mask:0xf bank_mask:0xf// 000000004AF4: 0A6464FA FF01521B
	v_mul_f32_dpp v51, v27, v51 row_newbcast:3 row_mask:0xf bank_mask:0xf// 000000004AFC: 0A6666FA FF01531B
	v_cvt_f32_i32_e32 v52, v52                                 // 000000004B04: 7E680B34
	v_cvt_f32_i32_e32 v53, v53                                 // 000000004B08: 7E6A0B35
	v_cvt_f32_i32_e32 v54, v54                                 // 000000004B0C: 7E6C0B36
	v_cvt_f32_i32_e32 v55, v55                                 // 000000004B10: 7E6E0B37
	v_mul_f32_dpp v52, v27, v52 row_newbcast:4 row_mask:0xf bank_mask:0xf// 000000004B14: 0A6868FA FF01541B
	v_mul_f32_dpp v53, v27, v53 row_newbcast:5 row_mask:0xf bank_mask:0xf// 000000004B1C: 0A6A6AFA FF01551B
	v_mul_f32_dpp v54, v27, v54 row_newbcast:6 row_mask:0xf bank_mask:0xf// 000000004B24: 0A6C6CFA FF01561B
	v_mul_f32_dpp v55, v27, v55 row_newbcast:7 row_mask:0xf bank_mask:0xf// 000000004B2C: 0A6E6EFA FF01571B
	v_mov_b32_e32 v4, v31                                      // 000000004B34: 7E08031F
	v_mov_b32_e32 v5, v4                                       // 000000004B38: 7E0A0304
	v_pk_mul_f32 v[40:41], v[4:5], v[40:41]                    // 000000004B3C: D3B14028 18025104
	v_pk_mul_f32 v[48:49], v[4:5], v[48:49]                    // 000000004B44: D3B14030 18026104
	v_pk_mul_f32 v[42:43], v[4:5], v[42:43]                    // 000000004B4C: D3B1402A 18025504
	v_pk_mul_f32 v[50:51], v[4:5], v[50:51]                    // 000000004B54: D3B14032 18026504
	v_pk_mul_f32 v[44:45], v[4:5], v[44:45]                    // 000000004B5C: D3B1402C 18025904
	v_pk_mul_f32 v[52:53], v[4:5], v[52:53]                    // 000000004B64: D3B14034 18026904
	v_pk_mul_f32 v[46:47], v[4:5], v[46:47]                    // 000000004B6C: D3B1402E 18025D04
	v_pk_mul_f32 v[54:55], v[4:5], v[54:55]                    // 000000004B74: D3B14036 18026D04
	s_cmp_eq_u32 s88, 0                                        // 000000004B7C: BF068058
	s_cbranch_scc0 label_09AD                                  // 000000004B80: BF840149
	s_cmp_eq_u32 s89, 0                                        // 000000004B84: BF068059
	s_cbranch_scc1 label_08BB                                  // 000000004B88: BF850055
	v_mov_b32_e32 v8, v1                                       // 000000004B8C: 7E100301
	v_mov_b32_e32 v9, v1                                       // 000000004B90: 7E120301
	s_mov_b32 s60, s6                                          // 000000004B94: BEBC0006
	s_mov_b32 s61, s6                                          // 000000004B98: BEBD0006
	v_pk_mul_f32 v[4:5], v[40:41], v[40:41]                    // 000000004B9C: D3B14004 18025128
	v_pk_mul_f32 v[6:7], v[42:43], v[42:43]                    // 000000004BA4: D3B14006 1802552A
	v_pk_fma_f32 v[4:5], v[4:5], s[78:79], v[8:9]              // 000000004BAC: D3B04004 1C209D04
	v_pk_fma_f32 v[6:7], v[6:7], s[78:79], v[8:9]              // 000000004BB4: D3B04006 1C209D06
	v_pk_mul_f32 v[4:5], v[4:5], v[40:41]                      // 000000004BBC: D3B14004 18025104
	v_pk_mul_f32 v[6:7], v[6:7], v[42:43]                      // 000000004BC4: D3B14006 18025506
	v_pk_mul_f32 v[4:5], v[4:5], s[60:61]                      // 000000004BCC: D3B14004 18007904
	v_pk_mul_f32 v[6:7], v[6:7], s[60:61]                      // 000000004BD4: D3B14006 18007906
	v_exp_f32_e32 v4, v4                                       // 000000004BDC: 7E084104
	v_exp_f32_e32 v5, v5                                       // 000000004BE0: 7E0A4105
	v_exp_f32_e32 v6, v6                                       // 000000004BE4: 7E0C4106
	v_exp_f32_e32 v7, v7                                       // 000000004BE8: 7E0E4107
	v_add_f32_e64 v4, v4, 1.0                                  // 000000004BEC: D1010004 0001E504
	v_add_f32_e64 v5, v5, 1.0                                  // 000000004BF4: D1010005 0001E505
	v_add_f32_e64 v6, v6, 1.0                                  // 000000004BFC: D1010006 0001E506
	v_add_f32_e64 v7, v7, 1.0                                  // 000000004C04: D1010007 0001E507
	v_rcp_f32_e32 v4, v4                                       // 000000004C0C: 7E084504
	v_rcp_f32_e32 v5, v5                                       // 000000004C10: 7E0A4505
	v_rcp_f32_e32 v6, v6                                       // 000000004C14: 7E0C4506
	v_rcp_f32_e32 v7, v7                                       // 000000004C18: 7E0E4507
	v_mul_f32_e32 v40, v40, v4                                 // 000000004C1C: 0A500928
	v_mul_f32_e32 v41, v41, v5                                 // 000000004C20: 0A520B29
	v_mul_f32_e32 v42, v42, v6                                 // 000000004C24: 0A540D2A
	v_mul_f32_e32 v43, v43, v7                                 // 000000004C28: 0A560F2B
	v_mul_f32_e32 v40, v40, v48                                // 000000004C2C: 0A506128
	v_mul_f32_e32 v41, v41, v49                                // 000000004C30: 0A526329
	v_mul_f32_e32 v42, v42, v50                                // 000000004C34: 0A54652A
	v_mul_f32_e32 v43, v43, v51                                // 000000004C38: 0A56672B
	v_pk_mul_f32 v[4:5], v[44:45], v[44:45]                    // 000000004C3C: D3B14004 1802592C
	v_pk_mul_f32 v[6:7], v[46:47], v[46:47]                    // 000000004C44: D3B14006 18025D2E
	v_pk_fma_f32 v[4:5], v[4:5], s[78:79], v[8:9]              // 000000004C4C: D3B04004 1C209D04
	v_pk_fma_f32 v[6:7], v[6:7], s[78:79], v[8:9]              // 000000004C54: D3B04006 1C209D06
	v_pk_mul_f32 v[4:5], v[4:5], v[44:45]                      // 000000004C5C: D3B14004 18025904
	v_pk_mul_f32 v[6:7], v[6:7], v[46:47]                      // 000000004C64: D3B14006 18025D06
	v_pk_mul_f32 v[4:5], v[4:5], s[60:61]                      // 000000004C6C: D3B14004 18007904
	v_pk_mul_f32 v[6:7], v[6:7], s[60:61]                      // 000000004C74: D3B14006 18007906
	v_exp_f32_e32 v4, v4                                       // 000000004C7C: 7E084104
	v_exp_f32_e32 v5, v5                                       // 000000004C80: 7E0A4105
	v_exp_f32_e32 v6, v6                                       // 000000004C84: 7E0C4106
	v_exp_f32_e32 v7, v7                                       // 000000004C88: 7E0E4107
	v_add_f32_e64 v4, v4, 1.0                                  // 000000004C8C: D1010004 0001E504
	v_add_f32_e64 v5, v5, 1.0                                  // 000000004C94: D1010005 0001E505
	v_add_f32_e64 v6, v6, 1.0                                  // 000000004C9C: D1010006 0001E506
	v_add_f32_e64 v7, v7, 1.0                                  // 000000004CA4: D1010007 0001E507
	v_rcp_f32_e32 v4, v4                                       // 000000004CAC: 7E084504
	v_rcp_f32_e32 v5, v5                                       // 000000004CB0: 7E0A4505
	v_rcp_f32_e32 v6, v6                                       // 000000004CB4: 7E0C4506
	v_rcp_f32_e32 v7, v7                                       // 000000004CB8: 7E0E4507
	v_mul_f32_e32 v44, v44, v4                                 // 000000004CBC: 0A58092C
	v_mul_f32_e32 v45, v45, v5                                 // 000000004CC0: 0A5A0B2D
	v_mul_f32_e32 v46, v46, v6                                 // 000000004CC4: 0A5C0D2E
	v_mul_f32_e32 v47, v47, v7                                 // 000000004CC8: 0A5E0F2F
	v_mul_f32_e32 v44, v44, v52                                // 000000004CCC: 0A58692C
	v_mul_f32_e32 v45, v45, v53                                // 000000004CD0: 0A5A6B2D
	v_mul_f32_e32 v46, v46, v54                                // 000000004CD4: 0A5C6D2E
	v_mul_f32_e32 v47, v47, v55                                // 000000004CD8: 0A5E6F2F
	s_branch label_08FB                                        // 000000004CDC: BF820040

0000000000004ce0 <label_08BB>:
	v_mul_f32_e64 v4, -v40, s6                                 // 000000004CE0: D1050004 20000D28
	v_mul_f32_e64 v5, -v41, s6                                 // 000000004CE8: D1050005 20000D29
	v_mul_f32_e64 v6, -v42, s6                                 // 000000004CF0: D1050006 20000D2A
	v_mul_f32_e64 v7, -v43, s6                                 // 000000004CF8: D1050007 20000D2B
	v_exp_f32_e32 v4, v4                                       // 000000004D00: 7E084104
	v_exp_f32_e32 v5, v5                                       // 000000004D04: 7E0A4105
	v_exp_f32_e32 v6, v6                                       // 000000004D08: 7E0C4106
	v_exp_f32_e32 v7, v7                                       // 000000004D0C: 7E0E4107
	v_add_f32_e64 v4, v4, 1.0                                  // 000000004D10: D1010004 0001E504
	v_add_f32_e64 v5, v5, 1.0                                  // 000000004D18: D1010005 0001E505
	v_add_f32_e64 v6, v6, 1.0                                  // 000000004D20: D1010006 0001E506
	v_add_f32_e64 v7, v7, 1.0                                  // 000000004D28: D1010007 0001E507
	v_rcp_f32_e32 v4, v4                                       // 000000004D30: 7E084504
	v_rcp_f32_e32 v5, v5                                       // 000000004D34: 7E0A4505
	v_rcp_f32_e32 v6, v6                                       // 000000004D38: 7E0C4506
	v_rcp_f32_e32 v7, v7                                       // 000000004D3C: 7E0E4507
	v_mul_f32_e32 v40, v40, v4                                 // 000000004D40: 0A500928
	v_mul_f32_e32 v41, v41, v5                                 // 000000004D44: 0A520B29
	v_mul_f32_e32 v42, v42, v6                                 // 000000004D48: 0A540D2A
	v_mul_f32_e32 v43, v43, v7                                 // 000000004D4C: 0A560F2B
	v_mul_f32_e32 v40, v40, v48                                // 000000004D50: 0A506128
	v_mul_f32_e32 v41, v41, v49                                // 000000004D54: 0A526329
	v_mul_f32_e32 v42, v42, v50                                // 000000004D58: 0A54652A
	v_mul_f32_e32 v43, v43, v51                                // 000000004D5C: 0A56672B
	v_mul_f32_e64 v4, -v44, s6                                 // 000000004D60: D1050004 20000D2C
	v_mul_f32_e64 v5, -v45, s6                                 // 000000004D68: D1050005 20000D2D
	v_mul_f32_e64 v6, -v46, s6                                 // 000000004D70: D1050006 20000D2E
	v_mul_f32_e64 v7, -v47, s6                                 // 000000004D78: D1050007 20000D2F
	v_exp_f32_e32 v4, v4                                       // 000000004D80: 7E084104
	v_exp_f32_e32 v5, v5                                       // 000000004D84: 7E0A4105
	v_exp_f32_e32 v6, v6                                       // 000000004D88: 7E0C4106
	v_exp_f32_e32 v7, v7                                       // 000000004D8C: 7E0E4107
	v_add_f32_e64 v4, v4, 1.0                                  // 000000004D90: D1010004 0001E504
	v_add_f32_e64 v5, v5, 1.0                                  // 000000004D98: D1010005 0001E505
	v_add_f32_e64 v6, v6, 1.0                                  // 000000004DA0: D1010006 0001E506
	v_add_f32_e64 v7, v7, 1.0                                  // 000000004DA8: D1010007 0001E507
	v_rcp_f32_e32 v4, v4                                       // 000000004DB0: 7E084504
	v_rcp_f32_e32 v5, v5                                       // 000000004DB4: 7E0A4505
	v_rcp_f32_e32 v6, v6                                       // 000000004DB8: 7E0C4506
	v_rcp_f32_e32 v7, v7                                       // 000000004DBC: 7E0E4507
	v_mul_f32_e32 v44, v44, v4                                 // 000000004DC0: 0A58092C
	v_mul_f32_e32 v45, v45, v5                                 // 000000004DC4: 0A5A0B2D
	v_mul_f32_e32 v46, v46, v6                                 // 000000004DC8: 0A5C0D2E
	v_mul_f32_e32 v47, v47, v7                                 // 000000004DCC: 0A5E0F2F
	v_mul_f32_e32 v44, v44, v52                                // 000000004DD0: 0A58692C
	v_mul_f32_e32 v45, v45, v53                                // 000000004DD4: 0A5A6B2D
	v_mul_f32_e32 v46, v46, v54                                // 000000004DD8: 0A5C6D2E
	v_mul_f32_e32 v47, v47, v55                                // 000000004DDC: 0A5E6F2F

0000000000004de0 <label_08FB>:
	v_cmp_u_f32_e64 s[46:47], v40, v40                         // 000000004DE0: D048002E 00025128
	v_add3_u32 v16, v40, v19, 1                                // 000000004DE8: D1FF0010 02062728
	v_cndmask_b32_e64 v4, v16, v18, s[46:47]                   // 000000004DF0: D1000004 00BA2510
	v_cmp_u_f32_e64 s[46:47], v41, v41                         // 000000004DF8: D048002E 00025329
	v_add3_u32 v16, v41, v19, 1                                // 000000004E00: D1FF0010 02062729
	v_cndmask_b32_e64 v5, v16, v18, s[46:47]                   // 000000004E08: D1000005 00BA2510
	v_perm_b32 v40, v5, v4, s52                                // 000000004E10: D1ED0028 00D20905
	v_cmp_u_f32_e64 s[46:47], v42, v42                         // 000000004E18: D048002E 0002552A
	v_add3_u32 v16, v42, v19, 1                                // 000000004E20: D1FF0010 0206272A
	v_cndmask_b32_e64 v4, v16, v18, s[46:47]                   // 000000004E28: D1000004 00BA2510
	v_cmp_u_f32_e64 s[46:47], v43, v43                         // 000000004E30: D048002E 0002572B
	v_add3_u32 v16, v43, v19, 1                                // 000000004E38: D1FF0010 0206272B
	v_cndmask_b32_e64 v5, v16, v18, s[46:47]                   // 000000004E40: D1000005 00BA2510
	v_perm_b32 v41, v5, v4, s52                                // 000000004E48: D1ED0029 00D20905
	v_cmp_u_f32_e64 s[46:47], v44, v44                         // 000000004E50: D048002E 0002592C
	v_add3_u32 v16, v44, v19, 1                                // 000000004E58: D1FF0010 0206272C
	v_cndmask_b32_e64 v4, v16, v18, s[46:47]                   // 000000004E60: D1000004 00BA2510
	v_cmp_u_f32_e64 s[46:47], v45, v45                         // 000000004E68: D048002E 00025B2D
	v_add3_u32 v16, v45, v19, 1                                // 000000004E70: D1FF0010 0206272D
	v_cndmask_b32_e64 v5, v16, v18, s[46:47]                   // 000000004E78: D1000005 00BA2510
	v_perm_b32 v42, v5, v4, s52                                // 000000004E80: D1ED002A 00D20905
	v_cmp_u_f32_e64 s[46:47], v46, v46                         // 000000004E88: D048002E 00025D2E
	v_add3_u32 v16, v46, v19, 1                                // 000000004E90: D1FF0010 0206272E
	v_cndmask_b32_e64 v4, v16, v18, s[46:47]                   // 000000004E98: D1000004 00BA2510
	v_cmp_u_f32_e64 s[46:47], v47, v47                         // 000000004EA0: D048002E 00025F2F
	v_add3_u32 v16, v47, v19, 1                                // 000000004EA8: D1FF0010 0206272F
	v_cndmask_b32_e64 v5, v16, v18, s[46:47]                   // 000000004EB0: D1000005 00BA2510
	v_perm_b32 v43, v5, v4, s52                                // 000000004EB8: D1ED002B 00D20905
	ds_write_b64 v20, v[40:41]                                 // 000000004EC0: D89A0000 00002814
	ds_write_b64 v20, v[42:43] offset:2176                     // 000000004EC8: D89A0880 00002A14
	v_lshrrev_b32_e32 v4, 5, v0                                // 000000004ED0: 20080085
	v_xor_b32_e32 v5, 1, v4                                    // 000000004ED4: 2A0A0881
	s_mul_i32 s60, s65, 2                                      // 000000004ED8: 923C8241
	s_cmp_eq_u32 s88, 0                                        // 000000004EDC: BF068058
	s_cselect_b32 s61, 1, 4                                    // 000000004EE0: 853D8481
	s_mul_i32 s60, s61, s60                                    // 000000004EE4: 923C3C3D
	v_readlane_b32 s82, v3, 0                                  // 000000004EE8: D2890052 00010103
	s_lshr_b32 s61, s82, 24                                    // 000000004EF0: 8F3D9852
	s_and_b32 s82, s82, 0xffffff                               // 000000004EF4: 8652FF52 00FFFFFF
	s_mul_i32 s82, s82, s71                                    // 000000004EFC: 92524752
	s_mul_i32 s61, s60, s61                                    // 000000004F00: 923D3D3C
	s_add_u32 s82, s82, s61                                    // 000000004F04: 80523D52
	v_mul_lo_u32 v6, v5, s82                                   // 000000004F08: D2850006 0000A505
	v_readlane_b32 s82, v3, 1                                  // 000000004F10: D2890052 00010303
	s_lshr_b32 s61, s82, 24                                    // 000000004F18: 8F3D9852
	s_and_b32 s82, s82, 0xffffff                               // 000000004F1C: 8652FF52 00FFFFFF
	s_mul_i32 s82, s82, s71                                    // 000000004F24: 92524752
	s_mul_i32 s61, s60, s61                                    // 000000004F28: 923D3D3C
	s_add_u32 s82, s82, s61                                    // 000000004F2C: 80523D52
	v_mul_lo_u32 v7, v4, s82                                   // 000000004F30: D2850007 0000A504
	v_add_u32_e32 v34, v6, v7                                  // 000000004F38: 68440F06
	v_readlane_b32 s82, v3, 2                                  // 000000004F3C: D2890052 00010503
	s_lshr_b32 s61, s82, 24                                    // 000000004F44: 8F3D9852
	s_and_b32 s82, s82, 0xffffff                               // 000000004F48: 8652FF52 00FFFFFF
	s_mul_i32 s82, s82, s71                                    // 000000004F50: 92524752
	s_mul_i32 s61, s60, s61                                    // 000000004F54: 923D3D3C
	s_add_u32 s82, s82, s61                                    // 000000004F58: 80523D52
	v_mul_lo_u32 v6, v5, s82                                   // 000000004F5C: D2850006 0000A505
	v_readlane_b32 s82, v3, 3                                  // 000000004F64: D2890052 00010703
	s_lshr_b32 s61, s82, 24                                    // 000000004F6C: 8F3D9852
	s_and_b32 s82, s82, 0xffffff                               // 000000004F70: 8652FF52 00FFFFFF
	s_mul_i32 s82, s82, s71                                    // 000000004F78: 92524752
	s_mul_i32 s61, s60, s61                                    // 000000004F7C: 923D3D3C
	s_add_u32 s82, s82, s61                                    // 000000004F80: 80523D52
	v_mul_lo_u32 v7, v4, s82                                   // 000000004F84: D2850007 0000A504
	v_add_u32_e32 v35, v6, v7                                  // 000000004F8C: 68460F06
	v_and_b32_e32 v4, 31, v0                                   // 000000004F90: 2608009F
	v_lshrrev_b32_e32 v4, 1, v4                                // 000000004F94: 20080881
	s_cmp_eq_u32 s88, 0                                        // 000000004F98: BF068058
	s_cselect_b32 s61, 2, 4                                    // 000000004F9C: 853D8482
	v_mul_lo_u32 v4, v4, s61                                   // 000000004FA0: D2850004 00007B04
	v_and_b32_e64 v5, v0, 1                                    // 000000004FA8: D1130005 00010300
	v_add_u32_e32 v4, v4, v5                                   // 000000004FB0: 68080B04
	v_lshlrev_b32_e32 v4, 2, v4                                // 000000004FB4: 24080882
	v_add_u32_e32 v34, v34, v4                                 // 000000004FB8: 68440922
	v_add_u32_e32 v35, v35, v4                                 // 000000004FBC: 68460923
	s_waitcnt lgkmcnt(0)                                       // 000000004FC0: BF8CC07F
	s_barrier                                                  // 000000004FC4: BF8A0000
	ds_read_b32 v40, v21                                       // 000000004FC8: D86C0000 28000015
	ds_read_b32 v41, v21 offset:64                             // 000000004FD0: D86C0040 29000015
	ds_read_b32 v42, v21 offset:2176                           // 000000004FD8: D86C0880 2A000015
	ds_read_b32 v43, v21 offset:2240                           // 000000004FE0: D86C08C0 2B000015
	s_waitcnt lgkmcnt(0)                                       // 000000004FE8: BF8CC07F
	s_mov_b32 s36, -1                                          // 000000004FEC: BEA400C1
	s_mov_b32 s37, -1                                          // 000000004FF0: BEA500C1
	v_mov_b32_e32 v7, 0                                        // 000000004FF4: 7E0E0280
	s_or_b32 s9, s9, 0x40000                                   // 000000004FF8: 8709FF09 00040000
	s_mov_b64 exec, s[36:37]                                   // 000000005000: BEFE0124
	v_mov_b32_e32 v6, v34                                      // 000000005004: 7E0C0322
	s_mov_b64 s[60:61], 0                                      // 000000005008: BEBC0180
	v_readlane_b32 s82, v3, 0                                  // 00000000500C: D2890052 00010103
	s_and_b32 s82, s82, 0xffffff                               // 000000005014: 8652FF52 00FFFFFF
	s_cmp_lt_u32 s82, s66                                      // 00000000501C: BF0A4252
	s_cselect_b32 s20, s36, s60                                // 000000005020: 85143C24
	v_readlane_b32 s82, v3, 1                                  // 000000005024: D2890052 00010303
	s_and_b32 s82, s82, 0xffffff                               // 00000000502C: 8652FF52 00FFFFFF
	s_cmp_lt_u32 s82, s66                                      // 000000005034: BF0A4252
	s_cselect_b32 s21, s36, s60                                // 000000005038: 85153C24
	s_mov_b64 exec, s[20:21]                                   // 00000000503C: BEFE0114
	buffer_store_dword v40, v6, s[8:11], 0 offen               // 000000005040: E0701000 80022806
	buffer_store_dword v42, v6, s[8:11], 0 offen offset:128    // 000000005048: E0701080 80022A06
	s_mov_b64 exec, s[36:37]                                   // 000000005050: BEFE0124
	v_mov_b32_e32 v6, v35                                      // 000000005054: 7E0C0323
	s_mov_b64 s[60:61], 0                                      // 000000005058: BEBC0180
	v_readlane_b32 s82, v3, 2                                  // 00000000505C: D2890052 00010503
	s_and_b32 s82, s82, 0xffffff                               // 000000005064: 8652FF52 00FFFFFF
	s_cmp_lt_u32 s82, s66                                      // 00000000506C: BF0A4252
	s_cselect_b32 s20, s36, s60                                // 000000005070: 85143C24
	v_readlane_b32 s82, v3, 3                                  // 000000005074: D2890052 00010703
	s_and_b32 s82, s82, 0xffffff                               // 00000000507C: 8652FF52 00FFFFFF
	s_cmp_lt_u32 s82, s66                                      // 000000005084: BF0A4252
	s_cselect_b32 s21, s36, s60                                // 000000005088: 85153C24
	s_mov_b64 exec, s[20:21]                                   // 00000000508C: BEFE0114
	buffer_store_dword v41, v6, s[8:11], 0 offen               // 000000005090: E0701000 80022906
	buffer_store_dword v43, v6, s[8:11], 0 offen offset:128    // 000000005098: E0701080 80022B06
	s_mov_b64 exec, s[36:37]                                   // 0000000050A0: BEFE0124
	s_branch label_0AD3                                        // 0000000050A4: BF820126

00000000000050a8 <label_09AD>:
	ds_write_b64 v20, v[40:41]                                 // 0000000050A8: D89A0000 00002814
	ds_write_b64 v20, v[44:45] offset:2176                     // 0000000050B0: D89A0880 00002C14
	v_lshrrev_b32_e32 v4, 5, v0                                // 0000000050B8: 20080085
	v_xor_b32_e32 v5, 1, v4                                    // 0000000050BC: 2A0A0881
	s_mul_i32 s60, s65, 2                                      // 0000000050C0: 923C8241
	s_cmp_eq_u32 s88, 0                                        // 0000000050C4: BF068058
	s_cselect_b32 s61, 1, 4                                    // 0000000050C8: 853D8481
	s_mul_i32 s60, s61, s60                                    // 0000000050CC: 923C3C3D
	v_readlane_b32 s82, v3, 0                                  // 0000000050D0: D2890052 00010103
	s_lshr_b32 s61, s82, 24                                    // 0000000050D8: 8F3D9852
	s_and_b32 s82, s82, 0xffffff                               // 0000000050DC: 8652FF52 00FFFFFF
	s_mul_i32 s82, s82, s71                                    // 0000000050E4: 92524752
	s_mul_i32 s61, s60, s61                                    // 0000000050E8: 923D3D3C
	s_add_u32 s82, s82, s61                                    // 0000000050EC: 80523D52
	v_mul_lo_u32 v6, v5, s82                                   // 0000000050F0: D2850006 0000A505
	v_readlane_b32 s82, v3, 1                                  // 0000000050F8: D2890052 00010303
	s_lshr_b32 s61, s82, 24                                    // 000000005100: 8F3D9852
	s_and_b32 s82, s82, 0xffffff                               // 000000005104: 8652FF52 00FFFFFF
	s_mul_i32 s82, s82, s71                                    // 00000000510C: 92524752
	s_mul_i32 s61, s60, s61                                    // 000000005110: 923D3D3C
	s_add_u32 s82, s82, s61                                    // 000000005114: 80523D52
	v_mul_lo_u32 v7, v4, s82                                   // 000000005118: D2850007 0000A504
	v_add_u32_e32 v34, v6, v7                                  // 000000005120: 68440F06
	v_readlane_b32 s82, v3, 2                                  // 000000005124: D2890052 00010503
	s_lshr_b32 s61, s82, 24                                    // 00000000512C: 8F3D9852
	s_and_b32 s82, s82, 0xffffff                               // 000000005130: 8652FF52 00FFFFFF
	s_mul_i32 s82, s82, s71                                    // 000000005138: 92524752
	s_mul_i32 s61, s60, s61                                    // 00000000513C: 923D3D3C
	s_add_u32 s82, s82, s61                                    // 000000005140: 80523D52
	v_mul_lo_u32 v6, v5, s82                                   // 000000005144: D2850006 0000A505
	v_readlane_b32 s82, v3, 3                                  // 00000000514C: D2890052 00010703
	s_lshr_b32 s61, s82, 24                                    // 000000005154: 8F3D9852
	s_and_b32 s82, s82, 0xffffff                               // 000000005158: 8652FF52 00FFFFFF
	s_mul_i32 s82, s82, s71                                    // 000000005160: 92524752
	s_mul_i32 s61, s60, s61                                    // 000000005164: 923D3D3C
	s_add_u32 s82, s82, s61                                    // 000000005168: 80523D52
	v_mul_lo_u32 v7, v4, s82                                   // 00000000516C: D2850007 0000A504
	v_add_u32_e32 v35, v6, v7                                  // 000000005174: 68460F06
	v_and_b32_e32 v4, 31, v0                                   // 000000005178: 2608009F
	v_lshrrev_b32_e32 v4, 1, v4                                // 00000000517C: 20080881
	s_cmp_eq_u32 s88, 0                                        // 000000005180: BF068058
	s_cselect_b32 s61, 2, 4                                    // 000000005184: 853D8482
	v_mul_lo_u32 v4, v4, s61                                   // 000000005188: D2850004 00007B04
	v_and_b32_e64 v5, v0, 1                                    // 000000005190: D1130005 00010300
	v_add_u32_e32 v4, v4, v5                                   // 000000005198: 68080B04
	v_lshlrev_b32_e32 v4, 2, v4                                // 00000000519C: 24080882
	v_add_u32_e32 v34, v34, v4                                 // 0000000051A0: 68440922
	v_add_u32_e32 v35, v35, v4                                 // 0000000051A4: 68460923
	s_waitcnt lgkmcnt(0)                                       // 0000000051A8: BF8CC07F
	s_barrier                                                  // 0000000051AC: BF8A0000
	ds_read_b32 v40, v21                                       // 0000000051B0: D86C0000 28000015
	ds_read_b32 v41, v21 offset:64                             // 0000000051B8: D86C0040 29000015
	ds_read_b32 v44, v21 offset:2176                           // 0000000051C0: D86C0880 2C000015
	ds_read_b32 v45, v21 offset:2240                           // 0000000051C8: D86C08C0 2D000015
	s_waitcnt lgkmcnt(0)                                       // 0000000051D0: BF8CC07F
	s_mov_b32 s36, -1                                          // 0000000051D4: BEA400C1
	s_mov_b32 s37, -1                                          // 0000000051D8: BEA500C1
	v_mov_b32_e32 v7, 0                                        // 0000000051DC: 7E0E0280
	s_mov_b64 exec, s[36:37]                                   // 0000000051E0: BEFE0124
	v_mov_b32_e32 v6, v34                                      // 0000000051E4: 7E0C0322
	s_mov_b64 s[60:61], 0                                      // 0000000051E8: BEBC0180
	v_readlane_b32 s82, v3, 0                                  // 0000000051EC: D2890052 00010103
	s_and_b32 s82, s82, 0xffffff                               // 0000000051F4: 8652FF52 00FFFFFF
	s_cmp_lt_u32 s82, s66                                      // 0000000051FC: BF0A4252
	s_cselect_b32 s20, s36, s60                                // 000000005200: 85143C24
	v_readlane_b32 s82, v3, 1                                  // 000000005204: D2890052 00010303
	s_and_b32 s82, s82, 0xffffff                               // 00000000520C: 8652FF52 00FFFFFF
	s_cmp_lt_u32 s82, s66                                      // 000000005214: BF0A4252
	s_cselect_b32 s21, s36, s60                                // 000000005218: 85153C24
	s_mov_b64 exec, s[20:21]                                   // 00000000521C: BEFE0114
	global_atomic_add_f32 v6, v40, s[8:9]                      // 000000005220: DD348000 00082806
	global_atomic_add_f32 v6, v44, s[8:9] offset:256           // 000000005228: DD348100 00082C06
	s_mov_b64 exec, s[36:37]                                   // 000000005230: BEFE0124
	v_mov_b32_e32 v6, v35                                      // 000000005234: 7E0C0323
	s_mov_b64 s[60:61], 0                                      // 000000005238: BEBC0180
	v_readlane_b32 s82, v3, 2                                  // 00000000523C: D2890052 00010503
	s_and_b32 s82, s82, 0xffffff                               // 000000005244: 8652FF52 00FFFFFF
	s_cmp_lt_u32 s82, s66                                      // 00000000524C: BF0A4252
	s_cselect_b32 s20, s36, s60                                // 000000005250: 85143C24
	v_readlane_b32 s82, v3, 3                                  // 000000005254: D2890052 00010703
	s_and_b32 s82, s82, 0xffffff                               // 00000000525C: 8652FF52 00FFFFFF
	s_cmp_lt_u32 s82, s66                                      // 000000005264: BF0A4252
	s_cselect_b32 s21, s36, s60                                // 000000005268: 85153C24
	s_mov_b64 exec, s[20:21]                                   // 00000000526C: BEFE0114
	global_atomic_add_f32 v6, v41, s[8:9]                      // 000000005270: DD348000 00082906
	global_atomic_add_f32 v6, v45, s[8:9] offset:256           // 000000005278: DD348100 00082D06
	s_mov_b64 exec, s[36:37]                                   // 000000005280: BEFE0124
	ds_write_b64 v20, v[42:43]                                 // 000000005284: D89A0000 00002A14
	ds_write_b64 v20, v[46:47] offset:2176                     // 00000000528C: D89A0880 00002E14
	s_waitcnt lgkmcnt(0)                                       // 000000005294: BF8CC07F
	s_barrier                                                  // 000000005298: BF8A0000
	ds_read_b32 v42, v21                                       // 00000000529C: D86C0000 2A000015
	ds_read_b32 v43, v21 offset:64                             // 0000000052A4: D86C0040 2B000015
	ds_read_b32 v46, v21 offset:2176                           // 0000000052AC: D86C0880 2E000015
	ds_read_b32 v47, v21 offset:2240                           // 0000000052B4: D86C08C0 2F000015
	s_waitcnt lgkmcnt(0)                                       // 0000000052BC: BF8CC07F
	v_mov_b32_e32 v7, 0                                        // 0000000052C0: 7E0E0280
	s_mov_b64 exec, s[36:37]                                   // 0000000052C4: BEFE0124
	v_mov_b32_e32 v6, v34                                      // 0000000052C8: 7E0C0322
	s_mov_b64 s[60:61], 0                                      // 0000000052CC: BEBC0180
	v_readlane_b32 s82, v3, 0                                  // 0000000052D0: D2890052 00010103
	s_and_b32 s82, s82, 0xffffff                               // 0000000052D8: 8652FF52 00FFFFFF
	s_cmp_lt_u32 s82, s66                                      // 0000000052E0: BF0A4252
	s_cselect_b32 s20, s36, s60                                // 0000000052E4: 85143C24
	v_readlane_b32 s82, v3, 1                                  // 0000000052E8: D2890052 00010303
	s_and_b32 s82, s82, 0xffffff                               // 0000000052F0: 8652FF52 00FFFFFF
	s_cmp_lt_u32 s82, s66                                      // 0000000052F8: BF0A4252
	s_cselect_b32 s21, s36, s60                                // 0000000052FC: 85153C24
	s_mov_b64 exec, s[20:21]                                   // 000000005300: BEFE0114
	global_atomic_add_f32 v6, v42, s[8:9] offset:8             // 000000005304: DD348008 00082A06
	global_atomic_add_f32 v6, v46, s[8:9] offset:264           // 00000000530C: DD348108 00082E06
	s_mov_b64 exec, s[36:37]                                   // 000000005314: BEFE0124
	v_mov_b32_e32 v6, v35                                      // 000000005318: 7E0C0323
	s_mov_b64 s[60:61], 0                                      // 00000000531C: BEBC0180
	v_readlane_b32 s82, v3, 2                                  // 000000005320: D2890052 00010503
	s_and_b32 s82, s82, 0xffffff                               // 000000005328: 8652FF52 00FFFFFF
	s_cmp_lt_u32 s82, s66                                      // 000000005330: BF0A4252
	s_cselect_b32 s20, s36, s60                                // 000000005334: 85143C24
	v_readlane_b32 s82, v3, 3                                  // 000000005338: D2890052 00010703
	s_and_b32 s82, s82, 0xffffff                               // 000000005340: 8652FF52 00FFFFFF
	s_cmp_lt_u32 s82, s66                                      // 000000005348: BF0A4252
	s_cselect_b32 s21, s36, s60                                // 00000000534C: 85153C24
	s_mov_b64 exec, s[20:21]                                   // 000000005350: BEFE0114
	global_atomic_add_f32 v6, v43, s[8:9] offset:8             // 000000005354: DD348008 00082B06
	global_atomic_add_f32 v6, v47, s[8:9] offset:264           // 00000000535C: DD348108 00082F06
	s_mov_b64 exec, s[36:37]                                   // 000000005364: BEFE0124
	ds_write_b64 v20, v[48:49]                                 // 000000005368: D89A0000 00003014
	ds_write_b64 v20, v[52:53] offset:2176                     // 000000005370: D89A0880 00003414
	s_waitcnt lgkmcnt(0)                                       // 000000005378: BF8CC07F
	s_barrier                                                  // 00000000537C: BF8A0000
	ds_read_b32 v48, v21                                       // 000000005380: D86C0000 30000015
	ds_read_b32 v49, v21 offset:64                             // 000000005388: D86C0040 31000015
	ds_read_b32 v52, v21 offset:2176                           // 000000005390: D86C0880 34000015
	ds_read_b32 v53, v21 offset:2240                           // 000000005398: D86C08C0 35000015
	s_mul_i32 s60, s65, 4                                      // 0000000053A0: 923C8441
	s_add_u32 s8, s60, s8                                      // 0000000053A4: 8008083C
	s_addc_u32 s9, 0, s9                                       // 0000000053A8: 82090980
	s_waitcnt lgkmcnt(0)                                       // 0000000053AC: BF8CC07F
	v_mov_b32_e32 v7, 0                                        // 0000000053B0: 7E0E0280
	s_mov_b64 exec, s[36:37]                                   // 0000000053B4: BEFE0124
	v_mov_b32_e32 v6, v34                                      // 0000000053B8: 7E0C0322
	s_mov_b64 s[60:61], 0                                      // 0000000053BC: BEBC0180
	v_readlane_b32 s82, v3, 0                                  // 0000000053C0: D2890052 00010103
	s_and_b32 s82, s82, 0xffffff                               // 0000000053C8: 8652FF52 00FFFFFF
	s_cmp_lt_u32 s82, s66                                      // 0000000053D0: BF0A4252
	s_cselect_b32 s20, s36, s60                                // 0000000053D4: 85143C24
	v_readlane_b32 s82, v3, 1                                  // 0000000053D8: D2890052 00010303
	s_and_b32 s82, s82, 0xffffff                               // 0000000053E0: 8652FF52 00FFFFFF
	s_cmp_lt_u32 s82, s66                                      // 0000000053E8: BF0A4252
	s_cselect_b32 s21, s36, s60                                // 0000000053EC: 85153C24
	s_mov_b64 exec, s[20:21]                                   // 0000000053F0: BEFE0114
	global_atomic_add_f32 v6, v48, s[8:9]                      // 0000000053F4: DD348000 00083006
	global_atomic_add_f32 v6, v52, s[8:9] offset:256           // 0000000053FC: DD348100 00083406
	s_mov_b64 exec, s[36:37]                                   // 000000005404: BEFE0124
	v_mov_b32_e32 v6, v35                                      // 000000005408: 7E0C0323
	s_mov_b64 s[60:61], 0                                      // 00000000540C: BEBC0180
	v_readlane_b32 s82, v3, 2                                  // 000000005410: D2890052 00010503
	s_and_b32 s82, s82, 0xffffff                               // 000000005418: 8652FF52 00FFFFFF
	s_cmp_lt_u32 s82, s66                                      // 000000005420: BF0A4252
	s_cselect_b32 s20, s36, s60                                // 000000005424: 85143C24
	v_readlane_b32 s82, v3, 3                                  // 000000005428: D2890052 00010703
	s_and_b32 s82, s82, 0xffffff                               // 000000005430: 8652FF52 00FFFFFF
	s_cmp_lt_u32 s82, s66                                      // 000000005438: BF0A4252
	s_cselect_b32 s21, s36, s60                                // 00000000543C: 85153C24
	s_mov_b64 exec, s[20:21]                                   // 000000005440: BEFE0114
	global_atomic_add_f32 v6, v49, s[8:9]                      // 000000005444: DD348000 00083106
	global_atomic_add_f32 v6, v53, s[8:9] offset:256           // 00000000544C: DD348100 00083506
	s_mov_b64 exec, s[36:37]                                   // 000000005454: BEFE0124
	ds_write_b64 v20, v[50:51]                                 // 000000005458: D89A0000 00003214
	ds_write_b64 v20, v[54:55] offset:2176                     // 000000005460: D89A0880 00003614
	s_waitcnt lgkmcnt(0)                                       // 000000005468: BF8CC07F
	s_barrier                                                  // 00000000546C: BF8A0000
	ds_read_b32 v50, v21                                       // 000000005470: D86C0000 32000015
	ds_read_b32 v51, v21 offset:64                             // 000000005478: D86C0040 33000015
	ds_read_b32 v54, v21 offset:2176                           // 000000005480: D86C0880 36000015
	ds_read_b32 v55, v21 offset:2240                           // 000000005488: D86C08C0 37000015
	s_waitcnt lgkmcnt(0)                                       // 000000005490: BF8CC07F
	v_mov_b32_e32 v7, 0                                        // 000000005494: 7E0E0280
	s_mov_b64 exec, s[36:37]                                   // 000000005498: BEFE0124
	v_mov_b32_e32 v6, v34                                      // 00000000549C: 7E0C0322
	s_mov_b64 s[60:61], 0                                      // 0000000054A0: BEBC0180
	v_readlane_b32 s82, v3, 0                                  // 0000000054A4: D2890052 00010103
	s_and_b32 s82, s82, 0xffffff                               // 0000000054AC: 8652FF52 00FFFFFF
	s_cmp_lt_u32 s82, s66                                      // 0000000054B4: BF0A4252
	s_cselect_b32 s20, s36, s60                                // 0000000054B8: 85143C24
	v_readlane_b32 s82, v3, 1                                  // 0000000054BC: D2890052 00010303
	s_and_b32 s82, s82, 0xffffff                               // 0000000054C4: 8652FF52 00FFFFFF
	s_cmp_lt_u32 s82, s66                                      // 0000000054CC: BF0A4252
	s_cselect_b32 s21, s36, s60                                // 0000000054D0: 85153C24
	s_mov_b64 exec, s[20:21]                                   // 0000000054D4: BEFE0114
	global_atomic_add_f32 v6, v50, s[8:9] offset:8             // 0000000054D8: DD348008 00083206
	global_atomic_add_f32 v6, v54, s[8:9] offset:264           // 0000000054E0: DD348108 00083606
	s_mov_b64 exec, s[36:37]                                   // 0000000054E8: BEFE0124
	v_mov_b32_e32 v6, v35                                      // 0000000054EC: 7E0C0323
	s_mov_b64 s[60:61], 0                                      // 0000000054F0: BEBC0180
	v_readlane_b32 s82, v3, 2                                  // 0000000054F4: D2890052 00010503
	s_and_b32 s82, s82, 0xffffff                               // 0000000054FC: 8652FF52 00FFFFFF
	s_cmp_lt_u32 s82, s66                                      // 000000005504: BF0A4252
	s_cselect_b32 s20, s36, s60                                // 000000005508: 85143C24
	v_readlane_b32 s82, v3, 3                                  // 00000000550C: D2890052 00010703
	s_and_b32 s82, s82, 0xffffff                               // 000000005514: 8652FF52 00FFFFFF
	s_cmp_lt_u32 s82, s66                                      // 00000000551C: BF0A4252
	s_cselect_b32 s21, s36, s60                                // 000000005520: 85153C24
	s_mov_b64 exec, s[20:21]                                   // 000000005524: BEFE0114
	global_atomic_add_f32 v6, v51, s[8:9] offset:8             // 000000005528: DD348008 00083306
	global_atomic_add_f32 v6, v55, s[8:9] offset:264           // 000000005530: DD348108 00083706
	s_mov_b64 exec, s[36:37]                                   // 000000005538: BEFE0124
	s_branch label_0AD3                                        // 00000000553C: BF820000

0000000000005540 <label_0AD3>:
	s_waitcnt vmcnt(0) expcnt(0) lgkmcnt(0)                    // 000000005540: BF8C0000
	s_endpgm                                                   // 000000005544: BF810000
